;; amdgpu-corpus repo=ROCm/rocFFT kind=compiled arch=gfx1201 opt=O3
	.text
	.amdgcn_target "amdgcn-amd-amdhsa--gfx1201"
	.amdhsa_code_object_version 6
	.protected	fft_rtc_back_len169_factors_13_13_wgs_156_tpt_13_dp_ip_CI_sbcc_twdbase5_3step_dirReg_intrinsicRead ; -- Begin function fft_rtc_back_len169_factors_13_13_wgs_156_tpt_13_dp_ip_CI_sbcc_twdbase5_3step_dirReg_intrinsicRead
	.globl	fft_rtc_back_len169_factors_13_13_wgs_156_tpt_13_dp_ip_CI_sbcc_twdbase5_3step_dirReg_intrinsicRead
	.p2align	8
	.type	fft_rtc_back_len169_factors_13_13_wgs_156_tpt_13_dp_ip_CI_sbcc_twdbase5_3step_dirReg_intrinsicRead,@function
fft_rtc_back_len169_factors_13_13_wgs_156_tpt_13_dp_ip_CI_sbcc_twdbase5_3step_dirReg_intrinsicRead: ; @fft_rtc_back_len169_factors_13_13_wgs_156_tpt_13_dp_ip_CI_sbcc_twdbase5_3step_dirReg_intrinsicRead
; %bb.0:
	s_load_b256 s[4:11], s[0:1], 0x8
	s_mov_b32 s18, ttmp9
	s_mov_b32 s2, exec_lo
	v_cmpx_gt_u32_e32 0x60, v0
	s_cbranch_execz .LBB0_2
; %bb.1:
	v_lshlrev_b32_e32 v5, 4, v0
	s_wait_kmcnt 0x0
	global_load_b128 v[1:4], v5, s[4:5]
	v_add3_u32 v5, 0, v5, 0x7ec0
	s_wait_loadcnt 0x0
	ds_store_2addr_b64 v5, v[1:2], v[3:4] offset1:1
.LBB0_2:
	s_or_b32 exec_lo, exec_lo, s2
	s_mov_b32 s19, 0
	s_mov_b32 s2, 0x55540000
	s_movk_i32 s3, 0x55
	s_wait_kmcnt 0x0
	s_mov_b32 s4, s19
	s_mov_b32 s5, s19
	s_load_b64 s[16:17], s[8:9], 0x8
	s_add_nc_u64 s[2:3], s[4:5], s[2:3]
	s_mov_b32 s15, s19
	s_add_co_i32 s3, s3, 0x15555500
	s_mov_b64 s[24:25], 0
	s_mul_u64 s[4:5], s[2:3], -12
	s_delay_alu instid0(SALU_CYCLE_1)
	s_mul_hi_u32 s13, s2, s5
	s_mul_i32 s12, s2, s5
	s_mul_hi_u32 s14, s2, s4
	s_mul_hi_u32 s20, s3, s4
	s_mul_i32 s4, s3, s4
	s_add_nc_u64 s[12:13], s[14:15], s[12:13]
	s_mul_hi_u32 s14, s3, s5
	s_add_co_u32 s4, s12, s4
	s_add_co_ci_u32 s4, s13, s20
	s_add_co_ci_u32 s13, s14, 0
	s_mul_i32 s12, s3, s5
	s_mov_b32 s5, s19
	s_delay_alu instid0(SALU_CYCLE_1) | instskip(SKIP_3) | instid1(VALU_DEP_1)
	s_add_nc_u64 s[4:5], s[4:5], s[12:13]
	s_wait_kmcnt 0x0
	s_add_nc_u64 s[12:13], s[16:17], -1
	v_add_co_u32 v1, s2, s2, s4
	s_cmp_lg_u32 s2, 0
	s_add_co_ci_u32 s15, s3, s5
	s_delay_alu instid0(VALU_DEP_1) | instskip(SKIP_3) | instid1(VALU_DEP_1)
	v_readfirstlane_b32 s14, v1
	s_mul_hi_u32 s3, s12, s15
	s_mul_i32 s2, s12, s15
	s_mov_b32 s5, s19
	s_mul_hi_u32 s4, s12, s14
	s_wait_alu 0xfffe
	s_add_nc_u64 s[2:3], s[4:5], s[2:3]
	s_mul_i32 s5, s13, s14
	s_mul_hi_u32 s14, s13, s14
	s_mul_hi_u32 s4, s13, s15
	s_wait_alu 0xfffe
	s_add_co_u32 s2, s2, s5
	s_add_co_ci_u32 s2, s3, s14
	s_add_co_ci_u32 s5, s4, 0
	s_mul_i32 s4, s13, s15
	s_mov_b32 s3, s19
	s_wait_alu 0xfffe
	s_add_nc_u64 s[2:3], s[2:3], s[4:5]
	s_wait_alu 0xfffe
	s_mul_u64 s[4:5], s[2:3], 12
	s_wait_alu 0xfffe
	v_sub_co_u32 v1, s4, s12, s4
	s_delay_alu instid0(VALU_DEP_1) | instskip(SKIP_1) | instid1(VALU_DEP_1)
	s_cmp_lg_u32 s4, 0
	s_sub_co_ci_u32 s14, s13, s5
	v_sub_co_u32 v2, s12, v1, 12
	s_delay_alu instid0(VALU_DEP_1) | instskip(SKIP_2) | instid1(VALU_DEP_2)
	s_cmp_lg_u32 s12, 0
	v_readfirstlane_b32 s20, v1
	s_sub_co_ci_u32 s12, s14, 0
	v_readfirstlane_b32 s4, v2
	s_delay_alu instid0(VALU_DEP_1)
	s_cmp_gt_u32 s4, 11
	s_add_nc_u64 s[4:5], s[2:3], 1
	s_cselect_b32 s15, -1, 0
	s_wait_alu 0xfffe
	s_cmp_eq_u32 s12, 0
	s_add_nc_u64 s[12:13], s[2:3], 2
	s_cselect_b32 s15, s15, -1
	s_delay_alu instid0(SALU_CYCLE_1)
	s_cmp_lg_u32 s15, 0
	s_wait_alu 0xfffe
	s_cselect_b32 s4, s12, s4
	s_cselect_b32 s5, s13, s5
	s_cmp_gt_u32 s20, 11
	s_cselect_b32 s12, -1, 0
	s_cmp_eq_u32 s14, 0
	s_wait_alu 0xfffe
	s_cselect_b32 s12, s12, -1
	s_wait_alu 0xfffe
	s_cmp_lg_u32 s12, 0
	s_cselect_b32 s3, s5, s3
	s_cselect_b32 s2, s4, s2
	s_wait_alu 0xfffe
	s_add_nc_u64 s[20:21], s[2:3], 1
	s_delay_alu instid0(SALU_CYCLE_1) | instskip(NEXT) | instid1(VALU_DEP_1)
	v_cmp_lt_u64_e64 s2, s[18:19], s[20:21]
	s_and_b32 vcc_lo, exec_lo, s2
	s_cbranch_vccnz .LBB0_4
; %bb.3:
	v_cvt_f32_u32_e32 v1, s20
	s_sub_co_i32 s3, 0, s20
	s_mov_b32 s25, s19
	s_delay_alu instid0(VALU_DEP_1) | instskip(NEXT) | instid1(TRANS32_DEP_1)
	v_rcp_iflag_f32_e32 v1, v1
	v_mul_f32_e32 v1, 0x4f7ffffe, v1
	s_delay_alu instid0(VALU_DEP_1) | instskip(NEXT) | instid1(VALU_DEP_1)
	v_cvt_u32_f32_e32 v1, v1
	v_readfirstlane_b32 s2, v1
	s_wait_alu 0xfffe
	s_delay_alu instid0(VALU_DEP_1)
	s_mul_i32 s3, s3, s2
	s_wait_alu 0xfffe
	s_mul_hi_u32 s3, s2, s3
	s_wait_alu 0xfffe
	s_add_co_i32 s2, s2, s3
	s_wait_alu 0xfffe
	s_mul_hi_u32 s2, s18, s2
	s_wait_alu 0xfffe
	s_mul_i32 s3, s2, s20
	s_add_co_i32 s4, s2, 1
	s_wait_alu 0xfffe
	s_sub_co_i32 s3, s18, s3
	s_wait_alu 0xfffe
	s_sub_co_i32 s5, s3, s20
	s_cmp_ge_u32 s3, s20
	s_cselect_b32 s2, s4, s2
	s_wait_alu 0xfffe
	s_cselect_b32 s3, s5, s3
	s_add_co_i32 s4, s2, 1
	s_wait_alu 0xfffe
	s_cmp_ge_u32 s3, s20
	s_cselect_b32 s24, s4, s2
.LBB0_4:
	s_load_b128 s[12:15], s[10:11], 0x0
	s_clause 0x1
	s_load_b64 s[2:3], s[0:1], 0x58
	s_load_b64 s[4:5], s[0:1], 0x0
	v_cmp_lt_u64_e64 s26, s[6:7], 3
	s_mul_u64 s[0:1], s[24:25], s[20:21]
	s_delay_alu instid0(SALU_CYCLE_1) | instskip(NEXT) | instid1(SALU_CYCLE_1)
	s_sub_nc_u64 s[0:1], s[18:19], s[0:1]
	s_mul_u64 s[22:23], s[0:1], 12
	s_delay_alu instid0(VALU_DEP_1)
	s_and_b32 vcc_lo, exec_lo, s26
	s_wait_kmcnt 0x0
	s_mul_u64 s[0:1], s[14:15], s[22:23]
	s_cbranch_vccnz .LBB0_14
; %bb.5:
	s_add_nc_u64 s[26:27], s[10:11], 16
	s_add_nc_u64 s[8:9], s[8:9], 16
	s_mov_b64 s[28:29], 2
	s_mov_b32 s30, 0
.LBB0_6:                                ; =>This Inner Loop Header: Depth=1
	s_load_b64 s[34:35], s[8:9], 0x0
                                        ; implicit-def: $sgpr38_sgpr39
	s_wait_kmcnt 0x0
	s_or_b64 s[36:37], s[24:25], s[34:35]
	s_delay_alu instid0(SALU_CYCLE_1)
	s_mov_b32 s31, s37
	s_mov_b32 s37, -1
	s_wait_alu 0xfffe
	s_cmp_lg_u64 s[30:31], 0
	s_cbranch_scc0 .LBB0_8
; %bb.7:                                ;   in Loop: Header=BB0_6 Depth=1
	s_cvt_f32_u32 s31, s34
	s_cvt_f32_u32 s33, s35
	s_sub_nc_u64 s[40:41], 0, s[34:35]
	s_mov_b32 s37, 0
	s_mov_b32 s45, s30
	s_wait_alu 0xfffe
	s_fmamk_f32 s31, s33, 0x4f800000, s31
	s_wait_alu 0xfffe
	s_delay_alu instid0(SALU_CYCLE_2) | instskip(NEXT) | instid1(TRANS32_DEP_1)
	v_s_rcp_f32 s31, s31
	s_mul_f32 s31, s31, 0x5f7ffffc
	s_wait_alu 0xfffe
	s_delay_alu instid0(SALU_CYCLE_2) | instskip(NEXT) | instid1(SALU_CYCLE_3)
	s_mul_f32 s33, s31, 0x2f800000
	s_trunc_f32 s33, s33
	s_delay_alu instid0(SALU_CYCLE_3) | instskip(SKIP_2) | instid1(SALU_CYCLE_1)
	s_fmamk_f32 s31, s33, 0xcf800000, s31
	s_cvt_u32_f32 s39, s33
	s_wait_alu 0xfffe
	s_cvt_u32_f32 s38, s31
	s_wait_alu 0xfffe
	s_delay_alu instid0(SALU_CYCLE_2)
	s_mul_u64 s[42:43], s[40:41], s[38:39]
	s_wait_alu 0xfffe
	s_mul_hi_u32 s47, s38, s43
	s_mul_i32 s46, s38, s43
	s_mul_hi_u32 s36, s38, s42
	s_mul_i32 s33, s39, s42
	s_add_nc_u64 s[46:47], s[36:37], s[46:47]
	s_mul_hi_u32 s31, s39, s42
	s_mul_hi_u32 s48, s39, s43
	s_add_co_u32 s33, s46, s33
	s_wait_alu 0xfffe
	s_add_co_ci_u32 s44, s47, s31
	s_mul_i32 s42, s39, s43
	s_add_co_ci_u32 s43, s48, 0
	s_wait_alu 0xfffe
	s_add_nc_u64 s[42:43], s[44:45], s[42:43]
	s_wait_alu 0xfffe
	v_add_co_u32 v1, s31, s38, s42
	s_delay_alu instid0(VALU_DEP_1) | instskip(SKIP_1) | instid1(VALU_DEP_1)
	s_cmp_lg_u32 s31, 0
	s_add_co_ci_u32 s39, s39, s43
	v_readfirstlane_b32 s38, v1
	s_mov_b32 s43, s30
	s_wait_alu 0xfffe
	s_delay_alu instid0(VALU_DEP_1)
	s_mul_u64 s[40:41], s[40:41], s[38:39]
	s_wait_alu 0xfffe
	s_mul_hi_u32 s45, s38, s41
	s_mul_i32 s44, s38, s41
	s_mul_hi_u32 s36, s38, s40
	s_mul_i32 s33, s39, s40
	s_add_nc_u64 s[44:45], s[36:37], s[44:45]
	s_mul_hi_u32 s31, s39, s40
	s_mul_hi_u32 s38, s39, s41
	s_add_co_u32 s33, s44, s33
	s_wait_alu 0xfffe
	s_add_co_ci_u32 s42, s45, s31
	s_mul_i32 s40, s39, s41
	s_add_co_ci_u32 s41, s38, 0
	s_wait_alu 0xfffe
	s_add_nc_u64 s[40:41], s[42:43], s[40:41]
	s_wait_alu 0xfffe
	v_add_co_u32 v1, s31, v1, s40
	s_delay_alu instid0(VALU_DEP_1) | instskip(SKIP_1) | instid1(VALU_DEP_1)
	s_cmp_lg_u32 s31, 0
	s_add_co_ci_u32 s31, s39, s41
	v_readfirstlane_b32 s33, v1
	s_wait_alu 0xfffe
	s_mul_hi_u32 s39, s24, s31
	s_mul_i32 s38, s24, s31
	s_mul_hi_u32 s41, s25, s31
	s_mul_i32 s40, s25, s31
	;; [unrolled: 2-line block ×3, first 2 shown]
	s_wait_alu 0xfffe
	s_add_nc_u64 s[38:39], s[36:37], s[38:39]
	s_mul_hi_u32 s33, s25, s33
	s_wait_alu 0xfffe
	s_add_co_u32 s31, s38, s31
	s_add_co_ci_u32 s42, s39, s33
	s_add_co_ci_u32 s41, s41, 0
	s_wait_alu 0xfffe
	s_add_nc_u64 s[38:39], s[42:43], s[40:41]
	s_wait_alu 0xfffe
	s_mul_u64 s[40:41], s[34:35], s[38:39]
	s_add_nc_u64 s[42:43], s[38:39], 1
	s_wait_alu 0xfffe
	v_sub_co_u32 v1, s31, s24, s40
	s_sub_co_i32 s33, s25, s41
	s_cmp_lg_u32 s31, 0
	s_add_nc_u64 s[44:45], s[38:39], 2
	s_delay_alu instid0(VALU_DEP_1) | instskip(SKIP_2) | instid1(VALU_DEP_1)
	v_sub_co_u32 v2, s36, v1, s34
	s_sub_co_ci_u32 s33, s33, s35
	s_cmp_lg_u32 s36, 0
	v_readfirstlane_b32 s36, v2
	s_sub_co_ci_u32 s33, s33, 0
	s_delay_alu instid0(SALU_CYCLE_1) | instskip(SKIP_1) | instid1(VALU_DEP_1)
	s_cmp_ge_u32 s33, s35
	s_cselect_b32 s40, -1, 0
	s_cmp_ge_u32 s36, s34
	s_cselect_b32 s36, -1, 0
	s_cmp_eq_u32 s33, s35
	s_wait_alu 0xfffe
	s_cselect_b32 s33, s36, s40
	s_delay_alu instid0(SALU_CYCLE_1)
	s_cmp_lg_u32 s33, 0
	s_cselect_b32 s33, s44, s42
	s_cselect_b32 s36, s45, s43
	s_cmp_lg_u32 s31, 0
	v_readfirstlane_b32 s31, v1
	s_sub_co_ci_u32 s40, s25, s41
	s_wait_alu 0xfffe
	s_cmp_ge_u32 s40, s35
	s_cselect_b32 s41, -1, 0
	s_cmp_ge_u32 s31, s34
	s_cselect_b32 s31, -1, 0
	s_cmp_eq_u32 s40, s35
	s_wait_alu 0xfffe
	s_cselect_b32 s31, s31, s41
	s_wait_alu 0xfffe
	s_cmp_lg_u32 s31, 0
	s_cselect_b32 s39, s36, s39
	s_cselect_b32 s38, s33, s38
.LBB0_8:                                ;   in Loop: Header=BB0_6 Depth=1
	s_and_not1_b32 vcc_lo, exec_lo, s37
	s_cbranch_vccnz .LBB0_10
; %bb.9:                                ;   in Loop: Header=BB0_6 Depth=1
	v_cvt_f32_u32_e32 v1, s34
	s_sub_co_i32 s33, 0, s34
	s_mov_b32 s39, s30
	s_delay_alu instid0(VALU_DEP_1) | instskip(NEXT) | instid1(TRANS32_DEP_1)
	v_rcp_iflag_f32_e32 v1, v1
	v_mul_f32_e32 v1, 0x4f7ffffe, v1
	s_delay_alu instid0(VALU_DEP_1) | instskip(NEXT) | instid1(VALU_DEP_1)
	v_cvt_u32_f32_e32 v1, v1
	v_readfirstlane_b32 s31, v1
	s_delay_alu instid0(VALU_DEP_1) | instskip(NEXT) | instid1(SALU_CYCLE_1)
	s_mul_i32 s33, s33, s31
	s_mul_hi_u32 s33, s31, s33
	s_delay_alu instid0(SALU_CYCLE_1)
	s_add_co_i32 s31, s31, s33
	s_wait_alu 0xfffe
	s_mul_hi_u32 s31, s24, s31
	s_wait_alu 0xfffe
	s_mul_i32 s33, s31, s34
	s_add_co_i32 s36, s31, 1
	s_sub_co_i32 s33, s24, s33
	s_delay_alu instid0(SALU_CYCLE_1)
	s_sub_co_i32 s37, s33, s34
	s_cmp_ge_u32 s33, s34
	s_cselect_b32 s31, s36, s31
	s_cselect_b32 s33, s37, s33
	s_wait_alu 0xfffe
	s_add_co_i32 s36, s31, 1
	s_cmp_ge_u32 s33, s34
	s_cselect_b32 s38, s36, s31
.LBB0_10:                               ;   in Loop: Header=BB0_6 Depth=1
	s_load_b64 s[36:37], s[26:27], 0x0
	s_add_nc_u64 s[28:29], s[28:29], 1
	s_mul_u64 s[20:21], s[34:35], s[20:21]
	s_wait_alu 0xfffe
	v_cmp_ge_u64_e64 s31, s[28:29], s[6:7]
	s_mul_u64 s[34:35], s[38:39], s[34:35]
	s_add_nc_u64 s[26:27], s[26:27], 8
	s_wait_alu 0xfffe
	s_sub_nc_u64 s[24:25], s[24:25], s[34:35]
	s_add_nc_u64 s[8:9], s[8:9], 8
	s_and_b32 vcc_lo, exec_lo, s31
	s_wait_kmcnt 0x0
	s_wait_alu 0xfffe
	s_mul_u64 s[24:25], s[36:37], s[24:25]
	s_wait_alu 0xfffe
	s_add_nc_u64 s[0:1], s[24:25], s[0:1]
	s_cbranch_vccnz .LBB0_12
; %bb.11:                               ;   in Loop: Header=BB0_6 Depth=1
	s_mov_b64 s[24:25], s[38:39]
	s_branch .LBB0_6
.LBB0_12:
	v_cmp_lt_u64_e64 s8, s[18:19], s[20:21]
	s_mov_b64 s[24:25], 0
	s_delay_alu instid0(VALU_DEP_1)
	s_and_b32 vcc_lo, exec_lo, s8
	s_cbranch_vccnz .LBB0_14
; %bb.13:
	v_cvt_f32_u32_e32 v1, s20
	s_sub_co_i32 s9, 0, s20
	s_mov_b32 s25, 0
	s_delay_alu instid0(VALU_DEP_1) | instskip(NEXT) | instid1(TRANS32_DEP_1)
	v_rcp_iflag_f32_e32 v1, v1
	v_mul_f32_e32 v1, 0x4f7ffffe, v1
	s_delay_alu instid0(VALU_DEP_1) | instskip(NEXT) | instid1(VALU_DEP_1)
	v_cvt_u32_f32_e32 v1, v1
	v_readfirstlane_b32 s8, v1
	s_delay_alu instid0(VALU_DEP_1) | instskip(NEXT) | instid1(SALU_CYCLE_1)
	s_mul_i32 s9, s9, s8
	s_mul_hi_u32 s9, s8, s9
	s_delay_alu instid0(SALU_CYCLE_1) | instskip(NEXT) | instid1(SALU_CYCLE_1)
	s_add_co_i32 s8, s8, s9
	s_mul_hi_u32 s8, s18, s8
	s_delay_alu instid0(SALU_CYCLE_1) | instskip(NEXT) | instid1(SALU_CYCLE_1)
	s_mul_i32 s9, s8, s20
	s_sub_co_i32 s9, s18, s9
	s_add_co_i32 s18, s8, 1
	s_sub_co_i32 s19, s9, s20
	s_cmp_ge_u32 s9, s20
	s_wait_alu 0xfffe
	s_cselect_b32 s8, s18, s8
	s_cselect_b32 s9, s19, s9
	s_add_co_i32 s18, s8, 1
	s_cmp_ge_u32 s9, s20
	s_wait_alu 0xfffe
	s_cselect_b32 s24, s18, s8
.LBB0_14:
	v_mul_hi_u32 v82, 0x15555556, v0
	s_lshl_b64 s[6:7], s[6:7], 3
	v_mov_b32_e32 v51, 0
	s_wait_alu 0xfffe
	s_add_nc_u64 s[6:7], s[10:11], s[6:7]
	v_mov_b32_e32 v52, 0
	s_load_b64 s[6:7], s[6:7], 0x0
	v_mov_b32_e32 v3, v51
	v_mov_b32_e32 v5, 0
	v_mul_u32_u24_e32 v1, 12, v82
	v_mov_b32_e32 v4, v52
	s_delay_alu instid0(VALU_DEP_2) | instskip(NEXT) | instid1(VALU_DEP_1)
	v_sub_nc_u32_e32 v83, v0, v1
	v_mad_co_u64_u32 v[53:54], null, s14, v83, 0
	v_add_co_u32 v55, s8, s22, v83
	s_delay_alu instid0(VALU_DEP_1) | instskip(SKIP_3) | instid1(VALU_DEP_3)
	v_add_co_ci_u32_e64 v56, null, s23, 0, s8
	s_add_nc_u64 s[8:9], s[22:23], 12
	s_wait_kmcnt 0x0
	s_mul_u64 s[6:7], s[6:7], s[24:25]
	v_mov_b32_e32 v1, v54
	s_wait_alu 0xfffe
	v_cmp_le_u64_e64 s8, s[8:9], s[16:17]
	v_cmp_gt_u64_e32 vcc_lo, s[16:17], v[55:56]
	s_add_nc_u64 s[0:1], s[6:7], s[0:1]
	v_mad_co_u64_u32 v[1:2], null, s15, v83, v[1:2]
	s_delay_alu instid0(VALU_DEP_3) | instskip(NEXT) | instid1(VALU_DEP_1)
	s_or_b32 s33, s8, vcc_lo
	v_dual_mov_b32 v54, v1 :: v_dual_mov_b32 v1, v51
	v_mov_b32_e32 v2, v52
	s_and_saveexec_b32 s6, s33
	s_cbranch_execz .LBB0_16
; %bb.15:
	v_mul_lo_u32 v1, s12, v82
	s_delay_alu instid0(VALU_DEP_1) | instskip(NEXT) | instid1(VALU_DEP_1)
	v_add3_u32 v4, s0, v53, v1
	v_lshlrev_b64_e32 v[1:2], 4, v[4:5]
	s_delay_alu instid0(VALU_DEP_1) | instskip(NEXT) | instid1(VALU_DEP_2)
	v_add_co_u32 v1, vcc_lo, s2, v1
	v_add_co_ci_u32_e32 v2, vcc_lo, s3, v2, vcc_lo
	global_load_b128 v[1:4], v[1:2], off
.LBB0_16:
	s_wait_alu 0xfffe
	s_or_b32 exec_lo, exec_lo, s6
	v_dual_mov_b32 v49, v51 :: v_dual_mov_b32 v50, v52
	s_and_saveexec_b32 s6, s33
	s_cbranch_execz .LBB0_18
; %bb.17:
	v_dual_mov_b32 v6, 0 :: v_dual_add_nc_u32 v5, 13, v82
	s_delay_alu instid0(VALU_DEP_1) | instskip(NEXT) | instid1(VALU_DEP_1)
	v_mul_lo_u32 v5, s12, v5
	v_add3_u32 v5, s0, v53, v5
	s_delay_alu instid0(VALU_DEP_1) | instskip(NEXT) | instid1(VALU_DEP_1)
	v_lshlrev_b64_e32 v[5:6], 4, v[5:6]
	v_add_co_u32 v5, vcc_lo, s2, v5
	s_wait_alu 0xfffd
	s_delay_alu instid0(VALU_DEP_2)
	v_add_co_ci_u32_e32 v6, vcc_lo, s3, v6, vcc_lo
	global_load_b128 v[49:52], v[5:6], off
.LBB0_18:
	s_wait_alu 0xfffe
	s_or_b32 exec_lo, exec_lo, s6
	v_mov_b32_e32 v43, 0
	v_mov_b32_e32 v44, 0
	s_delay_alu instid0(VALU_DEP_1)
	v_dual_mov_b32 v48, v44 :: v_dual_mov_b32 v47, v43
	v_dual_mov_b32 v46, v44 :: v_dual_mov_b32 v45, v43
	s_and_saveexec_b32 s6, s33
	s_cbranch_execz .LBB0_20
; %bb.19:
	v_dual_mov_b32 v6, 0 :: v_dual_add_nc_u32 v5, 26, v82
	s_delay_alu instid0(VALU_DEP_1) | instskip(NEXT) | instid1(VALU_DEP_1)
	v_mul_lo_u32 v5, s12, v5
	v_add3_u32 v5, s0, v53, v5
	s_delay_alu instid0(VALU_DEP_1) | instskip(NEXT) | instid1(VALU_DEP_1)
	v_lshlrev_b64_e32 v[5:6], 4, v[5:6]
	v_add_co_u32 v5, vcc_lo, s2, v5
	s_wait_alu 0xfffd
	s_delay_alu instid0(VALU_DEP_2)
	v_add_co_ci_u32_e32 v6, vcc_lo, s3, v6, vcc_lo
	global_load_b128 v[45:48], v[5:6], off
.LBB0_20:
	s_wait_alu 0xfffe
	s_or_b32 exec_lo, exec_lo, s6
	v_dual_mov_b32 v41, v43 :: v_dual_mov_b32 v42, v44
	s_and_saveexec_b32 s6, s33
	s_cbranch_execz .LBB0_22
; %bb.21:
	v_dual_mov_b32 v6, 0 :: v_dual_add_nc_u32 v5, 39, v82
	s_delay_alu instid0(VALU_DEP_1) | instskip(NEXT) | instid1(VALU_DEP_1)
	v_mul_lo_u32 v5, s12, v5
	v_add3_u32 v5, s0, v53, v5
	s_delay_alu instid0(VALU_DEP_1) | instskip(NEXT) | instid1(VALU_DEP_1)
	v_lshlrev_b64_e32 v[5:6], 4, v[5:6]
	v_add_co_u32 v5, vcc_lo, s2, v5
	s_wait_alu 0xfffd
	s_delay_alu instid0(VALU_DEP_2)
	v_add_co_ci_u32_e32 v6, vcc_lo, s3, v6, vcc_lo
	global_load_b128 v[41:44], v[5:6], off
.LBB0_22:
	s_wait_alu 0xfffe
	s_or_b32 exec_lo, exec_lo, s6
	v_mov_b32_e32 v35, 0
	v_mov_b32_e32 v36, 0
	s_delay_alu instid0(VALU_DEP_1)
	v_dual_mov_b32 v40, v36 :: v_dual_mov_b32 v39, v35
	v_dual_mov_b32 v38, v36 :: v_dual_mov_b32 v37, v35
	s_and_saveexec_b32 s6, s33
	s_cbranch_execz .LBB0_24
; %bb.23:
	v_dual_mov_b32 v6, 0 :: v_dual_add_nc_u32 v5, 52, v82
	s_delay_alu instid0(VALU_DEP_1) | instskip(NEXT) | instid1(VALU_DEP_1)
	v_mul_lo_u32 v5, s12, v5
	v_add3_u32 v5, s0, v53, v5
	s_delay_alu instid0(VALU_DEP_1) | instskip(NEXT) | instid1(VALU_DEP_1)
	v_lshlrev_b64_e32 v[5:6], 4, v[5:6]
	v_add_co_u32 v5, vcc_lo, s2, v5
	s_wait_alu 0xfffd
	s_delay_alu instid0(VALU_DEP_2)
	v_add_co_ci_u32_e32 v6, vcc_lo, s3, v6, vcc_lo
	global_load_b128 v[37:40], v[5:6], off
.LBB0_24:
	;; [unrolled: 40-line block ×5, first 2 shown]
	s_wait_alu 0xfffe
	s_or_b32 exec_lo, exec_lo, s6
	v_dual_mov_b32 v5, v7 :: v_dual_mov_b32 v6, v8
	s_and_saveexec_b32 s6, s33
	s_cbranch_execz .LBB0_38
; %bb.37:
	v_dual_mov_b32 v6, 0 :: v_dual_add_nc_u32 v5, 0x8f, v82
	s_delay_alu instid0(VALU_DEP_1) | instskip(NEXT) | instid1(VALU_DEP_1)
	v_mul_lo_u32 v5, s12, v5
	v_add3_u32 v5, s0, v53, v5
	s_delay_alu instid0(VALU_DEP_1) | instskip(NEXT) | instid1(VALU_DEP_1)
	v_lshlrev_b64_e32 v[5:6], 4, v[5:6]
	v_add_co_u32 v5, vcc_lo, s2, v5
	s_wait_alu 0xfffd
	s_delay_alu instid0(VALU_DEP_2)
	v_add_co_ci_u32_e32 v6, vcc_lo, s3, v6, vcc_lo
	global_load_b128 v[5:8], v[5:6], off
.LBB0_38:
	s_wait_alu 0xfffe
	s_or_b32 exec_lo, exec_lo, s6
	v_mov_b32_e32 v15, 0
	v_mov_b32_e32 v16, 0
	s_delay_alu instid0(VALU_DEP_1)
	v_dual_mov_b32 v13, v15 :: v_dual_mov_b32 v14, v16
	s_and_saveexec_b32 s6, s33
	s_cbranch_execz .LBB0_40
; %bb.39:
	v_dual_mov_b32 v14, 0 :: v_dual_add_nc_u32 v13, 0x9c, v82
	s_delay_alu instid0(VALU_DEP_1) | instskip(NEXT) | instid1(VALU_DEP_1)
	v_mul_lo_u32 v13, s12, v13
	v_add3_u32 v13, s0, v53, v13
	s_delay_alu instid0(VALU_DEP_1) | instskip(NEXT) | instid1(VALU_DEP_1)
	v_lshlrev_b64_e32 v[13:14], 4, v[13:14]
	v_add_co_u32 v13, vcc_lo, s2, v13
	s_wait_alu 0xfffd
	s_delay_alu instid0(VALU_DEP_2)
	v_add_co_ci_u32_e32 v14, vcc_lo, s3, v14, vcc_lo
	global_load_b128 v[13:16], v[13:14], off
.LBB0_40:
	s_wait_alu 0xfffe
	s_or_b32 exec_lo, exec_lo, s6
	s_wait_loadcnt 0x0
	v_add_f64_e32 v[58:59], v[1:2], v[49:50]
	v_add_f64_e32 v[60:61], v[3:4], v[51:52]
	v_add_f64_e64 v[66:67], v[51:52], -v[15:16]
	v_add_f64_e64 v[64:65], v[49:50], -v[13:14]
	;; [unrolled: 1-line block ×3, first 2 shown]
	v_add_f64_e32 v[70:71], v[37:38], v[9:10]
	v_add_f64_e64 v[88:89], v[37:38], -v[9:10]
	v_add_f64_e64 v[90:91], v[39:40], -v[11:12]
	s_mov_b32 s30, 0x4267c47c
	s_mov_b32 s22, 0x42a4c3d2
	;; [unrolled: 1-line block ×12, first 2 shown]
	v_add_f64_e32 v[56:57], v[49:50], v[13:14]
	v_add_f64_e32 v[49:50], v[51:52], v[15:16]
	v_add_f64_e64 v[76:77], v[47:48], -v[7:8]
	v_add_f64_e32 v[51:52], v[33:34], v[25:26]
	v_add_f64_e64 v[96:97], v[35:36], -v[27:28]
	v_add_f64_e64 v[80:81], v[33:34], -v[25:26]
	s_mov_b32 s6, 0xe00740e9
	s_mov_b32 s8, 0x1ea71119
	;; [unrolled: 1-line block ×12, first 2 shown]
	v_add_f64_e32 v[72:73], v[58:59], v[45:46]
	v_add_f64_e32 v[78:79], v[60:61], v[47:48]
	;; [unrolled: 1-line block ×4, first 2 shown]
	s_wait_alu 0xfffe
	v_mul_f64_e32 v[98:99], s[30:31], v[66:67]
	v_mul_f64_e32 v[102:103], s[22:23], v[66:67]
	;; [unrolled: 1-line block ×7, first 2 shown]
	v_add_f64_e32 v[58:59], v[47:48], v[7:8]
	v_add_f64_e32 v[47:48], v[35:36], v[27:28]
	v_mul_f64_e32 v[112:113], s[28:29], v[64:65]
	v_mul_f64_e32 v[100:101], s[30:31], v[64:65]
	;; [unrolled: 1-line block ×5, first 2 shown]
	v_add_f64_e64 v[84:85], v[41:42], -v[17:18]
	v_add_f64_e64 v[86:87], v[43:44], -v[19:20]
	s_mov_b32 s39, 0x3fe5384d
	s_mov_b32 s35, 0x3fefc445
	;; [unrolled: 1-line block ×6, first 2 shown]
	v_mul_f64_e32 v[118:119], s[22:23], v[76:77]
	v_mul_f64_e32 v[134:135], s[20:21], v[76:77]
	;; [unrolled: 1-line block ×3, first 2 shown]
	v_add_f64_e32 v[68:69], v[41:42], v[17:18]
	v_add_f64_e32 v[62:63], v[43:44], v[19:20]
	v_mul_f64_e32 v[154:155], s[26:27], v[76:77]
	v_mul_f64_e32 v[156:157], s[26:27], v[74:75]
	;; [unrolled: 1-line block ×3, first 2 shown]
	s_wait_alu 0xfffe
	v_mul_f64_e32 v[174:175], s[38:39], v[76:77]
	v_mul_f64_e32 v[176:177], s[34:35], v[76:77]
	;; [unrolled: 1-line block ×4, first 2 shown]
	v_add_f64_e32 v[92:93], v[72:73], v[41:42]
	v_add_f64_e32 v[94:95], v[78:79], v[43:44]
	v_add_f64_e64 v[78:79], v[31:32], -v[23:24]
	v_add_f64_e64 v[72:73], v[29:30], -v[21:22]
	v_fma_f64 v[200:201], v[56:57], s[6:7], v[98:99]
	v_fma_f64 v[98:99], v[56:57], s[6:7], -v[98:99]
	v_fma_f64 v[204:205], v[56:57], s[8:9], v[102:103]
	v_fma_f64 v[102:103], v[56:57], s[8:9], -v[102:103]
	;; [unrolled: 2-line block ×6, first 2 shown]
	v_fma_f64 v[66:67], v[49:50], s[8:9], -v[110:111]
	v_add_f64_e32 v[43:44], v[29:30], v[21:22]
	v_add_f64_e32 v[41:42], v[31:32], v[23:24]
	v_fma_f64 v[214:215], v[49:50], s[10:11], -v[112:113]
	v_fma_f64 v[202:203], v[49:50], s[6:7], -v[100:101]
	v_fma_f64 v[110:111], v[49:50], s[8:9], v[110:111]
	v_fma_f64 v[216:217], v[49:50], s[14:15], -v[114:115]
	v_fma_f64 v[114:115], v[49:50], s[14:15], v[114:115]
	v_mul_f64_e32 v[180:181], s[34:35], v[74:75]
	v_fma_f64 v[218:219], v[49:50], s[16:17], -v[116:117]
	v_fma_f64 v[116:117], v[49:50], s[16:17], v[116:117]
	v_mul_f64_e32 v[74:75], s[36:37], v[74:75]
	v_fma_f64 v[220:221], v[49:50], s[18:19], -v[64:65]
	v_fma_f64 v[100:101], v[49:50], s[6:7], v[100:101]
	v_fma_f64 v[112:113], v[49:50], s[10:11], v[112:113]
	;; [unrolled: 1-line block ×3, first 2 shown]
	s_mov_b32 s43, 0x3fedeba7
	s_mov_b32 s42, s20
	v_mul_f64_e32 v[122:123], s[28:29], v[86:87]
	v_mul_f64_e32 v[138:139], s[26:27], v[86:87]
	;; [unrolled: 1-line block ×3, first 2 shown]
	v_fma_f64 v[64:65], v[60:61], s[8:9], v[118:119]
	v_add_f64_e32 v[37:38], v[92:93], v[37:38]
	v_add_f64_e32 v[39:40], v[94:95], v[39:40]
	v_fma_f64 v[226:227], v[60:61], s[14:15], v[134:135]
	v_fma_f64 v[228:229], v[58:59], s[14:15], -v[136:137]
	v_add_f64_e32 v[200:201], v[1:2], v[200:201]
	s_wait_alu 0xfffe
	v_mul_f64_e32 v[158:159], s[42:43], v[86:87]
	v_add_f64_e32 v[204:205], v[1:2], v[204:205]
	v_mul_f64_e32 v[160:161], s[42:43], v[84:85]
	v_fma_f64 v[236:237], v[60:61], s[18:19], v[154:155]
	v_fma_f64 v[238:239], v[58:59], s[18:19], -v[156:157]
	v_add_f64_e32 v[206:207], v[1:2], v[206:207]
	v_mul_f64_e32 v[124:125], s[28:29], v[84:85]
	v_mul_f64_e32 v[182:183], s[36:37], v[86:87]
	;; [unrolled: 1-line block ×5, first 2 shown]
	v_add_f64_e32 v[66:67], v[3:4], v[66:67]
	v_fma_f64 v[222:223], v[58:59], s[8:9], -v[120:121]
	v_fma_f64 v[118:119], v[60:61], s[8:9], -v[118:119]
	v_add_f64_e32 v[214:215], v[3:4], v[214:215]
	v_fma_f64 v[134:135], v[60:61], s[14:15], -v[134:135]
	v_fma_f64 v[154:155], v[60:61], s[18:19], -v[154:155]
	v_fma_f64 v[246:247], v[60:61], s[16:17], v[174:175]
	v_fma_f64 v[174:175], v[60:61], s[16:17], -v[174:175]
	v_fma_f64 v[248:249], v[60:61], s[10:11], v[176:177]
	v_fma_f64 v[176:177], v[60:61], s[10:11], -v[176:177]
	v_fma_f64 v[250:251], v[60:61], s[6:7], v[76:77]
	v_fma_f64 v[60:61], v[60:61], s[6:7], -v[76:77]
	v_fma_f64 v[76:77], v[58:59], s[8:9], v[120:121]
	v_fma_f64 v[120:121], v[58:59], s[14:15], v[136:137]
	v_fma_f64 v[136:137], v[58:59], s[18:19], v[156:157]
	v_fma_f64 v[156:157], v[58:59], s[16:17], -v[178:179]
	v_fma_f64 v[178:179], v[58:59], s[16:17], v[178:179]
	v_add_f64_e32 v[202:203], v[3:4], v[202:203]
	v_add_f64_e32 v[98:99], v[1:2], v[98:99]
	;; [unrolled: 1-line block ×12, first 2 shown]
	v_mul_f64_e32 v[188:189], s[22:23], v[84:85]
	v_fma_f64 v[252:253], v[58:59], s[10:11], -v[180:181]
	v_fma_f64 v[180:181], v[58:59], s[10:11], v[180:181]
	v_add_f64_e32 v[218:219], v[3:4], v[218:219]
	v_add_f64_e32 v[116:117], v[3:4], v[116:117]
	;; [unrolled: 1-line block ×3, first 2 shown]
	v_mul_f64_e32 v[84:85], s[24:25], v[84:85]
	v_fma_f64 v[254:255], v[58:59], s[6:7], -v[74:75]
	v_add_f64_e32 v[220:221], v[3:4], v[220:221]
	v_fma_f64 v[58:59], v[58:59], s[6:7], v[74:75]
	v_add_f64_e32 v[100:101], v[3:4], v[100:101]
	v_add_f64_e32 v[112:113], v[3:4], v[112:113]
	;; [unrolled: 1-line block ×5, first 2 shown]
	s_mov_b32 s45, 0x3fcea1e5
	s_mov_b32 s44, s26
	v_mul_f64_e32 v[142:143], s[38:39], v[90:91]
	v_mul_f64_e32 v[144:145], s[38:39], v[88:89]
	v_fma_f64 v[230:231], v[68:69], s[18:19], v[138:139]
	v_fma_f64 v[232:233], v[62:63], s[18:19], -v[140:141]
	v_add_f64_e32 v[64:65], v[64:65], v[200:201]
	v_add_f64_e32 v[204:205], v[226:227], v[204:205]
	;; [unrolled: 1-line block ×3, first 2 shown]
	s_mov_b32 s41, 0x3fea55e2
	s_mov_b32 s40, s22
	v_mul_f64_e32 v[162:163], s[36:37], v[90:91]
	v_mul_f64_e32 v[164:165], s[36:37], v[88:89]
	v_fma_f64 v[240:241], v[68:69], s[14:15], v[158:159]
	v_fma_f64 v[242:243], v[62:63], s[14:15], -v[160:161]
	v_add_f64_e32 v[206:207], v[236:237], v[206:207]
	v_add_f64_e32 v[29:30], v[33:34], v[29:30]
	;; [unrolled: 1-line block ×3, first 2 shown]
	v_fma_f64 v[33:34], v[68:69], s[10:11], v[122:123]
	v_add_f64_e32 v[214:215], v[238:239], v[214:215]
	v_mul_f64_e32 v[126:127], s[20:21], v[90:91]
	v_mul_f64_e32 v[128:129], s[20:21], v[88:89]
	;; [unrolled: 1-line block ×5, first 2 shown]
	v_fma_f64 v[35:36], v[62:63], s[10:11], -v[124:125]
	v_fma_f64 v[74:75], v[68:69], s[10:11], -v[122:123]
	;; [unrolled: 1-line block ×4, first 2 shown]
	v_fma_f64 v[158:159], v[68:69], s[6:7], v[182:183]
	v_fma_f64 v[182:183], v[68:69], s[6:7], -v[182:183]
	v_add_f64_e32 v[202:203], v[222:223], v[202:203]
	v_add_f64_e32 v[98:99], v[118:119], v[98:99]
	;; [unrolled: 1-line block ×10, first 2 shown]
	s_wait_alu 0xfffe
	v_mul_f64_e32 v[90:91], s[40:41], v[90:91]
	v_mul_f64_e32 v[192:193], s[44:45], v[88:89]
	v_fma_f64 v[49:50], v[62:63], s[8:9], -v[188:189]
	v_fma_f64 v[56:57], v[62:63], s[8:9], v[188:189]
	v_add_f64_e32 v[218:219], v[252:253], v[218:219]
	v_add_f64_e32 v[116:117], v[180:181], v[116:117]
	;; [unrolled: 1-line block ×3, first 2 shown]
	v_mul_f64_e32 v[88:89], s[40:41], v[88:89]
	v_fma_f64 v[188:189], v[62:63], s[16:17], -v[84:85]
	v_add_f64_e32 v[220:221], v[254:255], v[220:221]
	v_add_f64_e32 v[1:2], v[60:61], v[1:2]
	;; [unrolled: 1-line block ×6, first 2 shown]
	v_fma_f64 v[29:30], v[68:69], s[8:9], v[184:185]
	v_fma_f64 v[31:32], v[68:69], s[8:9], -v[184:185]
	v_fma_f64 v[184:185], v[68:69], s[16:17], v[86:87]
	v_fma_f64 v[68:69], v[68:69], s[16:17], -v[86:87]
	v_fma_f64 v[86:87], v[62:63], s[10:11], v[124:125]
	v_fma_f64 v[124:125], v[62:63], s[18:19], v[140:141]
	;; [unrolled: 1-line block ×3, first 2 shown]
	v_fma_f64 v[160:161], v[62:63], s[6:7], -v[186:187]
	v_fma_f64 v[186:187], v[62:63], s[6:7], v[186:187]
	v_fma_f64 v[62:63], v[62:63], s[16:17], v[84:85]
	v_add_f64_e32 v[58:59], v[136:137], v[112:113]
	v_add_f64_e32 v[60:61], v[76:77], v[100:101]
	v_mul_f64_e32 v[146:147], s[34:35], v[96:97]
	v_mul_f64_e32 v[148:149], s[34:35], v[80:81]
	v_fma_f64 v[234:235], v[70:71], s[16:17], v[142:143]
	v_fma_f64 v[154:155], v[45:46], s[16:17], -v[144:145]
	v_add_f64_e32 v[33:34], v[33:34], v[64:65]
	v_add_f64_e32 v[64:65], v[230:231], v[204:205]
	;; [unrolled: 1-line block ×3, first 2 shown]
	v_mul_f64_e32 v[166:167], s[22:23], v[96:97]
	v_mul_f64_e32 v[168:169], s[22:23], v[80:81]
	v_fma_f64 v[244:245], v[70:71], s[6:7], v[162:163]
	v_fma_f64 v[248:249], v[45:46], s[6:7], -v[164:165]
	v_add_f64_e32 v[76:77], v[240:241], v[206:207]
	v_add_f64_e32 v[100:101], v[242:243], v[214:215]
	v_mul_f64_e32 v[92:93], s[24:25], v[96:97]
	v_mul_f64_e32 v[94:95], s[24:25], v[80:81]
	;; [unrolled: 1-line block ×6, first 2 shown]
	v_fma_f64 v[224:225], v[70:71], s[14:15], v[126:127]
	v_fma_f64 v[84:85], v[70:71], s[14:15], -v[126:127]
	v_fma_f64 v[126:127], v[70:71], s[16:17], -v[142:143]
	;; [unrolled: 1-line block ×3, first 2 shown]
	v_fma_f64 v[162:163], v[70:71], s[10:11], v[37:38]
	v_add_f64_e32 v[21:22], v[21:22], v[25:26]
	v_add_f64_e32 v[23:24], v[23:24], v[27:28]
	v_fma_f64 v[25:26], v[70:71], s[18:19], v[39:40]
	v_fma_f64 v[27:28], v[70:71], s[18:19], -v[39:40]
	v_fma_f64 v[236:237], v[45:46], s[14:15], -v[128:129]
	v_fma_f64 v[144:145], v[45:46], s[16:17], v[144:145]
	v_add_f64_e32 v[35:36], v[35:36], v[202:203]
	v_add_f64_e32 v[74:75], v[74:75], v[98:99]
	;; [unrolled: 1-line block ×10, first 2 shown]
	v_fma_f64 v[37:38], v[70:71], s[10:11], -v[37:38]
	v_fma_f64 v[39:40], v[70:71], s[8:9], v[90:91]
	v_fma_f64 v[70:71], v[70:71], s[8:9], -v[90:91]
	v_mul_f64_e32 v[90:91], s[36:37], v[80:81]
	v_fma_f64 v[112:113], v[45:46], s[18:19], -v[192:193]
	v_add_f64_e32 v[49:50], v[49:50], v[218:219]
	v_add_f64_e32 v[56:57], v[56:57], v[116:117]
	;; [unrolled: 1-line block ×3, first 2 shown]
	v_mul_f64_e32 v[80:81], s[20:21], v[80:81]
	v_fma_f64 v[136:137], v[45:46], s[18:19], v[192:193]
	v_add_f64_e32 v[138:139], v[188:189], v[220:221]
	v_fma_f64 v[128:129], v[45:46], s[14:15], v[128:129]
	v_fma_f64 v[164:165], v[45:46], s[6:7], v[164:165]
	v_add_f64_e32 v[1:2], v[68:69], v[1:2]
	v_add_f64_e32 v[3:4], v[62:63], v[3:4]
	v_add_f64_e32 v[106:107], v[182:183], v[106:107]
	v_add_f64_e32 v[58:59], v[140:141], v[58:59]
	v_add_f64_e32 v[60:61], v[86:87], v[60:61]
	v_mul_f64_e32 v[150:151], s[36:37], v[78:79]
	v_mul_f64_e32 v[152:153], s[36:37], v[72:73]
	v_fma_f64 v[246:247], v[51:52], s[10:11], v[146:147]
	v_fma_f64 v[216:217], v[47:48], s[10:11], -v[148:149]
	v_add_f64_e32 v[9:10], v[21:22], v[9:10]
	v_add_f64_e32 v[11:12], v[23:24], v[11:12]
	v_fma_f64 v[21:22], v[45:46], s[10:11], -v[190:191]
	v_fma_f64 v[23:24], v[45:46], s[10:11], v[190:191]
	v_fma_f64 v[190:191], v[45:46], s[8:9], -v[88:89]
	v_fma_f64 v[45:46], v[45:46], s[8:9], v[88:89]
	v_add_f64_e32 v[62:63], v[234:235], v[64:65]
	v_add_f64_e32 v[64:65], v[154:155], v[66:67]
	v_mul_f64_e32 v[170:171], s[24:25], v[78:79]
	v_mul_f64_e32 v[172:173], s[24:25], v[72:73]
	v_fma_f64 v[252:253], v[51:52], s[8:9], v[166:167]
	v_fma_f64 v[176:177], v[47:48], s[8:9], -v[168:169]
	v_add_f64_e32 v[66:67], v[244:245], v[76:77]
	v_add_f64_e32 v[68:69], v[248:249], v[100:101]
	v_mul_f64_e32 v[130:131], s[26:27], v[78:79]
	v_mul_f64_e32 v[200:201], s[40:41], v[78:79]
	;; [unrolled: 1-line block ×5, first 2 shown]
	v_fma_f64 v[238:239], v[51:52], s[16:17], v[92:93]
	v_fma_f64 v[118:119], v[47:48], s[16:17], -v[94:95]
	v_fma_f64 v[88:89], v[51:52], s[16:17], -v[92:93]
	;; [unrolled: 1-line block ×4, first 2 shown]
	v_fma_f64 v[166:167], v[51:52], s[18:19], v[194:195]
	v_fma_f64 v[108:109], v[51:52], s[18:19], -v[194:195]
	v_fma_f64 v[124:125], v[51:52], s[6:7], v[196:197]
	v_add_f64_e32 v[35:36], v[236:237], v[35:36]
	v_fma_f64 v[100:101], v[47:48], s[18:19], v[198:199]
	v_add_f64_e32 v[74:75], v[84:85], v[74:75]
	v_add_f64_e32 v[84:85], v[126:127], v[98:99]
	v_add_f64_e32 v[98:99], v[144:145], v[102:103]
	v_add_f64_e32 v[102:103], v[142:143], v[104:105]
	v_add_f64_e32 v[104:105], v[162:163], v[110:111]
	v_add_f64_e32 v[25:26], v[25:26], v[29:30]
	v_add_f64_e32 v[27:28], v[27:28], v[31:32]
	v_mul_f64_e32 v[132:133], s[26:27], v[72:73]
	v_mul_f64_e32 v[228:229], s[20:21], v[72:73]
	v_add_f64_e32 v[9:10], v[9:10], v[17:18]
	v_add_f64_e32 v[11:12], v[11:12], v[19:20]
	v_fma_f64 v[17:18], v[51:52], s[6:7], -v[196:197]
	v_fma_f64 v[19:20], v[51:52], s[14:15], v[96:97]
	v_fma_f64 v[51:52], v[51:52], s[14:15], -v[96:97]
	v_fma_f64 v[96:97], v[47:48], s[18:19], -v[198:199]
	v_add_f64_e32 v[21:22], v[21:22], v[122:123]
	v_add_f64_e32 v[23:24], v[23:24], v[114:115]
	;; [unrolled: 1-line block ×3, first 2 shown]
	v_fma_f64 v[86:87], v[47:48], s[10:11], v[148:149]
	v_fma_f64 v[140:141], v[47:48], s[6:7], -v[90:91]
	v_add_f64_e32 v[29:30], v[112:113], v[49:50]
	v_add_f64_e32 v[39:40], v[39:40], v[116:117]
	v_mul_f64_e32 v[72:73], s[34:35], v[72:73]
	v_fma_f64 v[31:32], v[47:48], s[14:15], -v[80:81]
	v_add_f64_e32 v[49:50], v[136:137], v[56:57]
	v_add_f64_e32 v[56:57], v[190:191], v[138:139]
	v_fma_f64 v[76:77], v[47:48], s[16:17], v[94:95]
	v_fma_f64 v[94:95], v[47:48], s[8:9], v[168:169]
	;; [unrolled: 1-line block ×4, first 2 shown]
	v_add_f64_e32 v[1:2], v[70:71], v[1:2]
	v_add_f64_e32 v[3:4], v[45:46], v[3:4]
	;; [unrolled: 1-line block ×5, first 2 shown]
	v_fma_f64 v[174:175], v[43:44], s[6:7], v[150:151]
	v_fma_f64 v[178:179], v[41:42], s[6:7], -v[152:153]
	v_add_f64_e32 v[58:59], v[246:247], v[62:63]
	v_add_f64_e32 v[62:63], v[216:217], v[64:65]
	v_fma_f64 v[180:181], v[43:44], s[16:17], v[170:171]
	v_add_f64_e32 v[64:65], v[252:253], v[66:67]
	v_add_f64_e32 v[66:67], v[176:177], v[68:69]
	v_fma_f64 v[68:69], v[41:42], s[16:17], -v[172:173]
	v_fma_f64 v[134:135], v[43:44], s[18:19], v[130:131]
	v_add_f64_e32 v[35:36], v[118:119], v[35:36]
	v_fma_f64 v[70:71], v[43:44], s[18:19], -v[130:131]
	v_fma_f64 v[80:81], v[43:44], s[6:7], -v[150:151]
	v_add_f64_e32 v[5:6], v[9:10], v[5:6]
	v_add_f64_e32 v[7:8], v[11:12], v[7:8]
	v_fma_f64 v[106:107], v[43:44], s[16:17], -v[170:171]
	v_fma_f64 v[110:111], v[43:44], s[8:9], v[200:201]
	v_fma_f64 v[112:113], v[43:44], s[8:9], -v[200:201]
	v_fma_f64 v[114:115], v[43:44], s[14:15], v[222:223]
	;; [unrolled: 2-line block ×3, first 2 shown]
	v_fma_f64 v[78:79], v[43:44], s[10:11], -v[78:79]
	v_add_f64_e32 v[43:44], v[88:89], v[74:75]
	v_add_f64_e32 v[74:75], v[92:93], v[84:85]
	v_add_f64_e32 v[88:89], v[166:167], v[104:105]
	v_add_f64_e32 v[21:22], v[96:97], v[21:22]
	v_add_f64_e32 v[92:93], v[100:101], v[23:24]
	v_add_f64_e32 v[96:97], v[124:125], v[25:26]
	v_add_f64_e32 v[100:101], v[17:18], v[27:28]
	v_fma_f64 v[26:27], v[41:42], s[8:9], -v[226:227]
	v_fma_f64 v[120:121], v[41:42], s[18:19], -v[132:133]
	v_add_f64_e32 v[33:34], v[238:239], v[33:34]
	v_add_f64_e32 v[84:85], v[86:87], v[98:99]
	;; [unrolled: 1-line block ×4, first 2 shown]
	v_fma_f64 v[39:40], v[41:42], s[14:15], -v[228:229]
	v_add_f64_e32 v[30:31], v[31:32], v[56:57]
	v_fma_f64 v[56:57], v[41:42], s[10:11], -v[72:73]
	v_add_f64_e32 v[51:52], v[51:52], v[1:2]
	v_add_f64_e32 v[47:48], v[47:48], v[3:4]
	v_fma_f64 v[72:73], v[41:42], s[10:11], v[72:73]
	v_add_f64_e32 v[37:38], v[108:109], v[37:38]
	v_add_f64_e32 v[49:50], v[90:91], v[49:50]
	v_fma_f64 v[90:91], v[41:42], s[14:15], v[228:229]
	v_add_f64_e32 v[86:87], v[146:147], v[102:103]
	v_fma_f64 v[102:103], v[41:42], s[8:9], v[226:227]
	;; [unrolled: 2-line block ×3, first 2 shown]
	v_fma_f64 v[108:109], v[41:42], s[6:7], v[152:153]
	v_fma_f64 v[122:123], v[41:42], s[18:19], v[132:133]
	v_add_f64_e32 v[60:61], v[76:77], v[60:61]
	v_add_f64_e32 v[9:10], v[174:175], v[58:59]
	;; [unrolled: 1-line block ×7, first 2 shown]
	v_mad_u32_u24 v23, 0x9c0, v82, 0
	v_add_f64_e32 v[17:18], v[70:71], v[43:44]
	v_add_f64_e32 v[24:25], v[110:111], v[88:89]
	;; [unrolled: 1-line block ×6, first 2 shown]
	v_lshl_add_u32 v21, v83, 4, v23
	v_add_f64_e32 v[34:35], v[39:40], v[98:99]
	v_add_f64_e32 v[40:41], v[118:119], v[19:20]
	;; [unrolled: 1-line block ×14, first 2 shown]
	ds_store_b128 v21, v[9:12] offset:384
	ds_store_b128 v21, v[13:16] offset:576
	;; [unrolled: 1-line block ×8, first 2 shown]
	ds_store_b128 v21, v[1:4]
	ds_store_b128 v21, v[5:8] offset:192
	ds_store_b128 v21, v[56:59] offset:1920
	;; [unrolled: 1-line block ×4, first 2 shown]
	global_wb scope:SCOPE_SE
	s_wait_dscnt 0x0
	s_barrier_signal -1
	s_barrier_wait -1
	global_inv scope:SCOPE_SE
	s_and_saveexec_b32 s46, s33
	s_cbranch_execz .LBB0_42
; %bb.41:
	v_mul_hi_u32 v1, 0x13b13b14, v82
	s_add_co_i32 s33, 0, 0x7ec0
	v_mul_lo_u32 v24, v55, -13
	v_mul_hi_u32 v0, 0x1a41a42, v0
	s_lshl_b64 s[0:1], s[0:1], 4
	s_wait_alu 0xfffe
	s_add_nc_u64 s[0:1], s[2:3], s[0:1]
	s_delay_alu instid0(VALU_DEP_3) | instskip(NEXT) | instid1(VALU_DEP_1)
	v_mul_u32_u24_e32 v1, 13, v1
	v_sub_nc_u32_e32 v61, v82, v1
	s_delay_alu instid0(VALU_DEP_1) | instskip(SKIP_1) | instid1(VALU_DEP_1)
	v_mul_lo_u32 v9, v61, v55
	v_add_nc_u32_e32 v10, 0x9c, v61
	v_mul_lo_u32 v26, v10, v55
	s_delay_alu instid0(VALU_DEP_3) | instskip(SKIP_2) | instid1(VALU_DEP_3)
	v_lshrrev_b32_e32 v1, 1, v9
	v_and_b32_e32 v2, 31, v9
	v_lshrrev_b32_e32 v9, 6, v9
	v_and_b32_e32 v1, 0x1f0, v1
	s_delay_alu instid0(VALU_DEP_3) | instskip(SKIP_1) | instid1(VALU_DEP_4)
	v_lshl_add_u32 v5, v2, 4, 0
	v_lshrrev_b32_e32 v13, 1, v26
	v_and_b32_e32 v9, 0x1f0, v9
	v_and_b32_e32 v14, 31, v26
	v_add_nc_u32_e32 v1, s33, v1
	v_add_nc_u32_e32 v25, v26, v24
	v_and_b32_e32 v13, 0x1f0, v13
	v_add_nc_u32_e32 v9, s33, v9
	v_lshl_add_u32 v17, v14, 4, 0
	ds_load_b128 v[1:4], v1 offset:512
	ds_load_b128 v[5:8], v5 offset:32448
	v_lshrrev_b32_e32 v26, 6, v26
	v_add_nc_u32_e32 v13, s33, v13
	ds_load_b128 v[9:12], v9 offset:1024
	v_lshrrev_b32_e32 v27, 6, v25
	ds_load_b128 v[13:16], v13 offset:512
	ds_load_b128 v[17:20], v17 offset:32448
	v_and_b32_e32 v26, 0x1f0, v26
	v_and_b32_e32 v27, 0x1f0, v27
	s_delay_alu instid0(VALU_DEP_2) | instskip(NEXT) | instid1(VALU_DEP_2)
	v_add_nc_u32_e32 v26, s33, v26
	v_add_nc_u32_e32 v27, s33, v27
	ds_load_b128 v[62:65], v26 offset:1024
	ds_load_b128 v[66:69], v27 offset:1024
	s_wait_dscnt 0x5
	v_mul_f64_e32 v[21:22], v[7:8], v[3:4]
	v_mul_f64_e32 v[3:4], v[5:6], v[3:4]
	s_wait_dscnt 0x2
	v_mul_f64_e32 v[26:27], v[19:20], v[15:16]
	s_delay_alu instid0(VALU_DEP_3) | instskip(NEXT) | instid1(VALU_DEP_3)
	v_fma_f64 v[128:129], v[5:6], v[1:2], -v[21:22]
	v_fma_f64 v[130:131], v[7:8], v[1:2], v[3:4]
	v_mul_f64_e32 v[1:2], v[17:18], v[15:16]
	v_lshrrev_b32_e32 v3, 1, v25
	v_and_b32_e32 v4, 31, v25
	v_add_nc_u32_e32 v15, v25, v24
	v_fma_f64 v[132:133], v[17:18], v[13:14], -v[26:27]
	s_delay_alu instid0(VALU_DEP_4) | instskip(NEXT) | instid1(VALU_DEP_4)
	v_and_b32_e32 v3, 0x1f0, v3
	v_lshl_add_u32 v4, v4, 4, 0
	s_delay_alu instid0(VALU_DEP_4) | instskip(SKIP_3) | instid1(VALU_DEP_4)
	v_lshrrev_b32_e32 v16, 1, v15
	v_and_b32_e32 v17, 31, v15
	v_add_nc_u32_e32 v18, v15, v24
	v_add_nc_u32_e32 v5, s33, v3
	v_and_b32_e32 v16, 0x1f0, v16
	s_delay_alu instid0(VALU_DEP_4) | instskip(NEXT) | instid1(VALU_DEP_2)
	v_lshl_add_u32 v17, v17, 4, 0
	v_add_nc_u32_e32 v16, s33, v16
	v_fma_f64 v[134:135], v[19:20], v[13:14], v[1:2]
	ds_load_b128 v[1:4], v4 offset:32448
	ds_load_b128 v[5:8], v5 offset:512
	s_wait_dscnt 0x0
	v_mul_f64_e32 v[13:14], v[3:4], v[7:8]
	v_mul_f64_e32 v[7:8], v[1:2], v[7:8]
	s_delay_alu instid0(VALU_DEP_2) | instskip(NEXT) | instid1(VALU_DEP_2)
	v_fma_f64 v[136:137], v[1:2], v[5:6], -v[13:14]
	v_fma_f64 v[138:139], v[3:4], v[5:6], v[7:8]
	ds_load_b128 v[1:4], v16 offset:512
	ds_load_b128 v[5:8], v17 offset:32448
	v_lshrrev_b32_e32 v13, 6, v15
	v_lshrrev_b32_e32 v14, 6, v18
	s_delay_alu instid0(VALU_DEP_2) | instskip(NEXT) | instid1(VALU_DEP_2)
	v_and_b32_e32 v13, 0x1f0, v13
	v_and_b32_e32 v14, 0x1f0, v14
	s_delay_alu instid0(VALU_DEP_2) | instskip(NEXT) | instid1(VALU_DEP_2)
	v_add_nc_u32_e32 v13, s33, v13
	v_add_nc_u32_e32 v14, s33, v14
	ds_load_b128 v[70:73], v13 offset:1024
	ds_load_b128 v[74:77], v14 offset:1024
	s_wait_dscnt 0x2
	v_mul_f64_e32 v[13:14], v[7:8], v[3:4]
	v_mul_f64_e32 v[3:4], v[5:6], v[3:4]
	s_delay_alu instid0(VALU_DEP_2) | instskip(NEXT) | instid1(VALU_DEP_2)
	v_fma_f64 v[140:141], v[5:6], v[1:2], -v[13:14]
	v_fma_f64 v[142:143], v[7:8], v[1:2], v[3:4]
	v_lshrrev_b32_e32 v1, 1, v18
	v_and_b32_e32 v2, 31, v18
	s_delay_alu instid0(VALU_DEP_2) | instskip(NEXT) | instid1(VALU_DEP_2)
	v_and_b32_e32 v1, 0x1f0, v1
	v_lshl_add_u32 v2, v2, 4, 0
	s_delay_alu instid0(VALU_DEP_2) | instskip(SKIP_4) | instid1(VALU_DEP_1)
	v_add_nc_u32_e32 v5, s33, v1
	ds_load_b128 v[1:4], v2 offset:32448
	ds_load_b128 v[5:8], v5 offset:512
	s_wait_dscnt 0x0
	v_mul_f64_e32 v[13:14], v[3:4], v[7:8]
	v_fma_f64 v[144:145], v[1:2], v[5:6], -v[13:14]
	v_mul_f64_e32 v[1:2], v[1:2], v[7:8]
	s_delay_alu instid0(VALU_DEP_1) | instskip(SKIP_1) | instid1(VALU_DEP_1)
	v_fma_f64 v[146:147], v[3:4], v[5:6], v[1:2]
	v_add_nc_u32_e32 v1, v18, v24
	v_add_nc_u32_e32 v15, v1, v24
	v_lshrrev_b32_e32 v2, 1, v1
	v_lshrrev_b32_e32 v3, 6, v1
	v_and_b32_e32 v1, 31, v1
	s_delay_alu instid0(VALU_DEP_4) | instskip(NEXT) | instid1(VALU_DEP_4)
	v_lshrrev_b32_e32 v4, 6, v15
	v_and_b32_e32 v2, 0x1f0, v2
	s_delay_alu instid0(VALU_DEP_4) | instskip(NEXT) | instid1(VALU_DEP_4)
	v_and_b32_e32 v3, 0x1f0, v3
	v_lshl_add_u32 v5, v1, 4, 0
	s_delay_alu instid0(VALU_DEP_4) | instskip(NEXT) | instid1(VALU_DEP_4)
	v_and_b32_e32 v4, 0x1f0, v4
	v_add_nc_u32_e32 v2, s33, v2
	s_delay_alu instid0(VALU_DEP_4) | instskip(NEXT) | instid1(VALU_DEP_3)
	v_add_nc_u32_e32 v13, s33, v3
	v_add_nc_u32_e32 v14, s33, v4
	ds_load_b128 v[1:4], v2 offset:512
	ds_load_b128 v[5:8], v5 offset:32448
	ds_load_b128 v[78:81], v13 offset:1024
	ds_load_b128 v[84:87], v14 offset:1024
	s_wait_dscnt 0x2
	v_mul_f64_e32 v[13:14], v[7:8], v[3:4]
	v_mul_f64_e32 v[3:4], v[5:6], v[3:4]
	s_delay_alu instid0(VALU_DEP_2) | instskip(NEXT) | instid1(VALU_DEP_2)
	v_fma_f64 v[148:149], v[5:6], v[1:2], -v[13:14]
	v_fma_f64 v[150:151], v[7:8], v[1:2], v[3:4]
	v_lshrrev_b32_e32 v1, 1, v15
	v_and_b32_e32 v2, 31, v15
	s_delay_alu instid0(VALU_DEP_2) | instskip(NEXT) | instid1(VALU_DEP_2)
	v_and_b32_e32 v1, 0x1f0, v1
	v_lshl_add_u32 v2, v2, 4, 0
	s_delay_alu instid0(VALU_DEP_2) | instskip(SKIP_4) | instid1(VALU_DEP_1)
	v_add_nc_u32_e32 v5, s33, v1
	ds_load_b128 v[1:4], v2 offset:32448
	ds_load_b128 v[5:8], v5 offset:512
	s_wait_dscnt 0x0
	v_mul_f64_e32 v[13:14], v[3:4], v[7:8]
	v_fma_f64 v[152:153], v[1:2], v[5:6], -v[13:14]
	v_mul_f64_e32 v[1:2], v[1:2], v[7:8]
	s_delay_alu instid0(VALU_DEP_1) | instskip(SKIP_1) | instid1(VALU_DEP_1)
	v_fma_f64 v[154:155], v[3:4], v[5:6], v[1:2]
	v_add_nc_u32_e32 v1, v15, v24
	v_add_nc_u32_e32 v15, v1, v24
	v_lshrrev_b32_e32 v2, 1, v1
	v_lshrrev_b32_e32 v3, 6, v1
	v_and_b32_e32 v1, 31, v1
	s_delay_alu instid0(VALU_DEP_4) | instskip(NEXT) | instid1(VALU_DEP_4)
	v_lshrrev_b32_e32 v4, 6, v15
	v_and_b32_e32 v2, 0x1f0, v2
	s_delay_alu instid0(VALU_DEP_4) | instskip(NEXT) | instid1(VALU_DEP_4)
	v_and_b32_e32 v3, 0x1f0, v3
	v_lshl_add_u32 v5, v1, 4, 0
	s_delay_alu instid0(VALU_DEP_4) | instskip(NEXT) | instid1(VALU_DEP_4)
	v_and_b32_e32 v4, 0x1f0, v4
	v_add_nc_u32_e32 v2, s33, v2
	s_delay_alu instid0(VALU_DEP_4) | instskip(NEXT) | instid1(VALU_DEP_3)
	v_add_nc_u32_e32 v13, s33, v3
	v_add_nc_u32_e32 v14, s33, v4
	ds_load_b128 v[1:4], v2 offset:512
	ds_load_b128 v[5:8], v5 offset:32448
	;; [unrolled: 42-line block ×4, first 2 shown]
	ds_load_b128 v[104:107], v13 offset:1024
	ds_load_b128 v[108:111], v14 offset:1024
	s_wait_dscnt 0x2
	v_mul_f64_e32 v[13:14], v[7:8], v[3:4]
	v_mul_f64_e32 v[3:4], v[5:6], v[3:4]
	s_delay_alu instid0(VALU_DEP_2) | instskip(NEXT) | instid1(VALU_DEP_2)
	v_fma_f64 v[172:173], v[5:6], v[1:2], -v[13:14]
	v_fma_f64 v[174:175], v[7:8], v[1:2], v[3:4]
	v_lshrrev_b32_e32 v1, 1, v15
	v_and_b32_e32 v2, 31, v15
	s_delay_alu instid0(VALU_DEP_2) | instskip(NEXT) | instid1(VALU_DEP_2)
	v_and_b32_e32 v1, 0x1f0, v1
	v_lshl_add_u32 v2, v2, 4, 0
	s_delay_alu instid0(VALU_DEP_2)
	v_add_nc_u32_e32 v5, s33, v1
	ds_load_b128 v[1:4], v2 offset:32448
	ds_load_b128 v[5:8], v5 offset:512
	scratch_store_b64 off, v[53:54], off    ; 8-byte Folded Spill
	s_wait_dscnt 0x0
	v_mul_f64_e32 v[13:14], v[3:4], v[7:8]
	s_delay_alu instid0(VALU_DEP_1) | instskip(SKIP_1) | instid1(VALU_DEP_1)
	v_fma_f64 v[176:177], v[1:2], v[5:6], -v[13:14]
	v_mul_f64_e32 v[1:2], v[1:2], v[7:8]
	v_fma_f64 v[178:179], v[3:4], v[5:6], v[1:2]
	v_mul_i32_i24_e32 v1, 0xfffff700, v82
	v_lshlrev_b32_e32 v2, 4, v83
	s_delay_alu instid0(VALU_DEP_1) | instskip(SKIP_1) | instid1(VALU_DEP_1)
	v_add3_u32 v53, v23, v1, v2
	v_mul_u32_u24_e32 v1, 12, v61
	v_lshlrev_b32_e32 v54, 4, v1
	global_load_b128 v[5:8], v54, s[4:5]
	ds_load_b128 v[15:18], v53 offset:2496
	ds_load_b128 v[1:4], v53
	ds_load_b128 v[21:24], v53 offset:29952
	s_clause 0x1
	global_load_b128 v[45:48], v54, s[4:5] offset:16
	global_load_b128 v[112:115], v54, s[4:5] offset:160
	s_wait_loadcnt_dscnt 0x202
	v_mul_f64_e32 v[13:14], v[17:18], v[7:8]
	v_mul_f64_e32 v[7:8], v[15:16], v[7:8]
	s_delay_alu instid0(VALU_DEP_2) | instskip(NEXT) | instid1(VALU_DEP_2)
	v_fma_f64 v[13:14], v[15:16], v[5:6], v[13:14]
	v_fma_f64 v[15:16], v[17:18], v[5:6], -v[7:8]
	global_load_b128 v[17:20], v54, s[4:5] offset:176
	s_wait_loadcnt_dscnt 0x0
	v_mul_f64_e32 v[5:6], v[23:24], v[19:20]
	v_mul_f64_e32 v[7:8], v[21:22], v[19:20]
	s_delay_alu instid0(VALU_DEP_2)
	v_fma_f64 v[5:6], v[21:22], v[17:18], v[5:6]
	global_load_b128 v[19:22], v54, s[4:5] offset:80
	v_fma_f64 v[7:8], v[23:24], v[17:18], -v[7:8]
	ds_load_b128 v[23:26], v53 offset:14976
	ds_load_b128 v[27:30], v53 offset:17472
	global_load_b128 v[31:34], v54, s[4:5] offset:64
	s_wait_loadcnt_dscnt 0x101
	v_mul_f64_e32 v[17:18], v[25:26], v[21:22]
	v_mul_f64_e32 v[21:22], v[23:24], v[21:22]
	s_delay_alu instid0(VALU_DEP_2) | instskip(NEXT) | instid1(VALU_DEP_2)
	v_fma_f64 v[180:181], v[23:24], v[19:20], v[17:18]
	v_fma_f64 v[19:20], v[25:26], v[19:20], -v[21:22]
	s_clause 0x1
	global_load_b128 v[23:26], v54, s[4:5] offset:96
	global_load_b128 v[35:38], v54, s[4:5] offset:112
	s_wait_loadcnt_dscnt 0x100
	v_mul_f64_e32 v[21:22], v[29:30], v[25:26]
	v_mul_f64_e32 v[25:26], v[27:28], v[25:26]
	s_delay_alu instid0(VALU_DEP_2) | instskip(NEXT) | instid1(VALU_DEP_2)
	v_fma_f64 v[21:22], v[27:28], v[23:24], v[21:22]
	v_fma_f64 v[23:24], v[29:30], v[23:24], -v[25:26]
	ds_load_b128 v[27:30], v53 offset:12480
	ds_load_b128 v[39:42], v53 offset:9984
	s_wait_dscnt 0x1
	v_mul_f64_e32 v[25:26], v[29:30], v[33:34]
	s_delay_alu instid0(VALU_DEP_1) | instskip(SKIP_1) | instid1(VALU_DEP_1)
	v_fma_f64 v[25:26], v[27:28], v[31:32], v[25:26]
	v_mul_f64_e32 v[27:28], v[27:28], v[33:34]
	v_fma_f64 v[29:30], v[29:30], v[31:32], -v[27:28]
	ds_load_b128 v[31:34], v53 offset:19968
	ds_load_b128 v[49:52], v53 offset:22464
	s_wait_loadcnt_dscnt 0x1
	v_mul_f64_e32 v[27:28], v[33:34], v[37:38]
	s_delay_alu instid0(VALU_DEP_1) | instskip(SKIP_1) | instid1(VALU_DEP_1)
	v_fma_f64 v[27:28], v[31:32], v[35:36], v[27:28]
	v_mul_f64_e32 v[31:32], v[31:32], v[37:38]
	v_fma_f64 v[31:32], v[33:34], v[35:36], -v[31:32]
	s_clause 0x1
	global_load_b128 v[33:36], v54, s[4:5] offset:48
	global_load_b128 v[55:58], v54, s[4:5] offset:32
	s_wait_loadcnt 0x1
	v_mul_f64_e32 v[37:38], v[41:42], v[35:36]
	v_mul_f64_e32 v[35:36], v[39:40], v[35:36]
	s_delay_alu instid0(VALU_DEP_2) | instskip(NEXT) | instid1(VALU_DEP_2)
	v_fma_f64 v[37:38], v[39:40], v[33:34], v[37:38]
	v_fma_f64 v[39:40], v[41:42], v[33:34], -v[35:36]
	s_clause 0x1
	global_load_b128 v[41:44], v54, s[4:5] offset:128
	global_load_b128 v[116:119], v54, s[4:5] offset:144
	s_wait_loadcnt_dscnt 0x100
	v_mul_f64_e32 v[33:34], v[51:52], v[43:44]
	v_mul_f64_e32 v[35:36], v[49:50], v[43:44]
	s_delay_alu instid0(VALU_DEP_2) | instskip(NEXT) | instid1(VALU_DEP_2)
	v_fma_f64 v[33:34], v[49:50], v[41:42], v[33:34]
	v_fma_f64 v[35:36], v[51:52], v[41:42], -v[35:36]
	ds_load_b128 v[41:44], v53 offset:7488
	ds_load_b128 v[120:123], v53 offset:4992
	s_wait_dscnt 0x1
	v_mul_f64_e32 v[49:50], v[43:44], v[57:58]
	s_delay_alu instid0(VALU_DEP_1)
	v_fma_f64 v[51:52], v[41:42], v[55:56], v[49:50]
	v_mul_f64_e32 v[41:42], v[41:42], v[57:58]
	ds_load_b128 v[57:60], v53 offset:24960
	ds_load_b128 v[124:127], v53 offset:27456
	s_wait_dscnt 0x2
	v_mul_f64_e32 v[49:50], v[122:123], v[47:48]
	v_mul_f64_e32 v[47:48], v[120:121], v[47:48]
	v_fma_f64 v[55:56], v[43:44], v[55:56], -v[41:42]
	s_wait_loadcnt_dscnt 0x1
	v_mul_f64_e32 v[41:42], v[59:60], v[118:119]
	v_mul_f64_e32 v[43:44], v[57:58], v[118:119]
	s_delay_alu instid0(VALU_DEP_2) | instskip(NEXT) | instid1(VALU_DEP_2)
	v_fma_f64 v[41:42], v[57:58], v[116:117], v[41:42]
	v_fma_f64 v[43:44], v[59:60], v[116:117], -v[43:44]
	v_fma_f64 v[57:58], v[120:121], v[45:46], v[49:50]
	v_fma_f64 v[59:60], v[122:123], v[45:46], -v[47:48]
	s_wait_dscnt 0x0
	v_mul_f64_e32 v[45:46], v[126:127], v[114:115]
	s_delay_alu instid0(VALU_DEP_1) | instskip(SKIP_1) | instid1(VALU_DEP_1)
	v_fma_f64 v[47:48], v[124:125], v[112:113], v[45:46]
	v_mul_f64_e32 v[45:46], v[124:125], v[114:115]
	v_fma_f64 v[49:50], v[126:127], v[112:113], -v[45:46]
	v_mul_f64_e32 v[45:46], v[130:131], v[11:12]
	v_mul_f64_e32 v[11:12], v[128:129], v[11:12]
	s_delay_alu instid0(VALU_DEP_2) | instskip(NEXT) | instid1(VALU_DEP_2)
	v_fma_f64 v[17:18], v[9:10], v[128:129], -v[45:46]
	v_fma_f64 v[9:10], v[9:10], v[130:131], v[11:12]
	v_mul_f64_e32 v[11:12], v[132:133], v[64:65]
	v_mul_f64_e32 v[64:65], v[134:135], v[64:65]
	s_clause 0x1
	scratch_store_b64 off, v[17:18], off offset:8
	scratch_store_b64 off, v[9:10], off offset:16
	v_fma_f64 v[17:18], v[62:63], v[134:135], v[11:12]
	v_fma_f64 v[112:113], v[62:63], v[132:133], -v[64:65]
	v_mul_f64_e32 v[62:63], v[136:137], v[68:69]
	v_mul_f64_e32 v[64:65], v[178:179], v[110:111]
	v_add_f64_e32 v[132:133], v[57:58], v[47:48]
	s_delay_alu instid0(VALU_DEP_3) | instskip(SKIP_1) | instid1(VALU_DEP_4)
	v_fma_f64 v[114:115], v[66:67], v[138:139], v[62:63]
	v_mul_f64_e32 v[62:63], v[138:139], v[68:69]
	v_fma_f64 v[68:69], v[108:109], v[176:177], -v[64:65]
	v_add_f64_e32 v[138:139], v[55:56], v[43:44]
	s_delay_alu instid0(VALU_DEP_3) | instskip(SKIP_1) | instid1(VALU_DEP_1)
	v_fma_f64 v[116:117], v[66:67], v[136:137], -v[62:63]
	v_mul_f64_e32 v[62:63], v[140:141], v[72:73]
	v_fma_f64 v[9:10], v[70:71], v[142:143], v[62:63]
	v_mul_f64_e32 v[62:63], v[142:143], v[72:73]
	scratch_store_b64 off, v[9:10], off offset:32 ; 8-byte Folded Spill
	v_fma_f64 v[9:10], v[70:71], v[140:141], -v[62:63]
	v_mul_f64_e32 v[62:63], v[144:145], v[76:77]
	scratch_store_b64 off, v[9:10], off offset:24 ; 8-byte Folded Spill
	v_fma_f64 v[9:10], v[74:75], v[146:147], v[62:63]
	v_mul_f64_e32 v[62:63], v[146:147], v[76:77]
	scratch_store_b64 off, v[9:10], off offset:64 ; 8-byte Folded Spill
	v_fma_f64 v[9:10], v[74:75], v[144:145], -v[62:63]
	v_mul_f64_e32 v[62:63], v[148:149], v[80:81]
	v_add_f64_e32 v[144:145], v[51:52], v[41:42]
	scratch_store_b64 off, v[9:10], off offset:56 ; 8-byte Folded Spill
	v_fma_f64 v[9:10], v[78:79], v[150:151], v[62:63]
	v_mul_f64_e32 v[62:63], v[150:151], v[80:81]
	v_add_f64_e32 v[150:151], v[39:40], v[35:36]
	scratch_store_b64 off, v[9:10], off offset:96 ; 8-byte Folded Spill
	v_fma_f64 v[9:10], v[78:79], v[148:149], -v[62:63]
	v_mul_f64_e32 v[62:63], v[154:155], v[86:87]
	scratch_store_b64 off, v[9:10], off offset:88 ; 8-byte Folded Spill
	v_fma_f64 v[130:131], v[84:85], v[152:153], -v[62:63]
	v_mul_f64_e32 v[62:63], v[152:153], v[86:87]
	s_clause 0x4
	scratch_store_b64 off, v[5:6], off offset:48
	scratch_store_b64 off, v[13:14], off offset:80
	;; [unrolled: 1-line block ×5, first 2 shown]
	v_fma_f64 v[86:87], v[84:85], v[154:155], v[62:63]
	v_mul_f64_e32 v[62:63], v[158:159], v[90:91]
	s_delay_alu instid0(VALU_DEP_1) | instskip(SKIP_3) | instid1(VALU_DEP_3)
	v_fma_f64 v[82:83], v[88:89], v[156:157], -v[62:63]
	v_mul_f64_e32 v[62:63], v[156:157], v[90:91]
	v_add_f64_e64 v[90:91], v[13:14], -v[5:6]
	v_add_f64_e32 v[156:157], v[37:38], v[33:34]
	v_fma_f64 v[84:85], v[88:89], v[158:159], v[62:63]
	v_mul_f64_e32 v[62:63], v[162:163], v[94:95]
	s_delay_alu instid0(VALU_DEP_1) | instskip(SKIP_2) | instid1(VALU_DEP_2)
	v_fma_f64 v[78:79], v[92:93], v[160:161], -v[62:63]
	v_mul_f64_e32 v[62:63], v[160:161], v[94:95]
	v_add_f64_e64 v[94:95], v[57:58], -v[47:48]
	v_fma_f64 v[80:81], v[92:93], v[162:163], v[62:63]
	v_mul_f64_e32 v[62:63], v[164:165], v[98:99]
	v_mul_f64_e32 v[92:93], s[30:31], v[90:91]
	v_add_f64_e32 v[162:163], v[29:30], v[31:32]
	s_delay_alu instid0(VALU_DEP_3) | instskip(SKIP_1) | instid1(VALU_DEP_1)
	v_fma_f64 v[74:75], v[96:97], v[166:167], v[62:63]
	v_mul_f64_e32 v[62:63], v[166:167], v[98:99]
	v_fma_f64 v[88:89], v[96:97], v[164:165], -v[62:63]
	v_mul_f64_e32 v[62:63], v[168:169], v[102:103]
	v_mul_f64_e32 v[96:97], s[22:23], v[94:95]
	s_delay_alu instid0(VALU_DEP_2) | instskip(SKIP_1) | instid1(VALU_DEP_1)
	v_fma_f64 v[70:71], v[100:101], v[170:171], v[62:63]
	v_mul_f64_e32 v[62:63], v[170:171], v[102:103]
	v_fma_f64 v[76:77], v[100:101], v[168:169], -v[62:63]
	v_mul_f64_e32 v[62:63], v[172:173], v[106:107]
	v_add_f64_e32 v[168:169], v[25:26], v[27:28]
	s_delay_alu instid0(VALU_DEP_2) | instskip(SKIP_3) | instid1(VALU_DEP_3)
	v_fma_f64 v[66:67], v[104:105], v[174:175], v[62:63]
	v_mul_f64_e32 v[62:63], v[174:175], v[106:107]
	v_add_f64_e32 v[106:107], v[15:16], v[7:8]
	v_add_f64_e32 v[174:175], v[180:181], v[21:22]
	v_fma_f64 v[72:73], v[104:105], v[172:173], -v[62:63]
	v_mul_f64_e32 v[62:63], v[176:177], v[110:111]
	s_delay_alu instid0(VALU_DEP_4) | instskip(SKIP_2) | instid1(VALU_DEP_4)
	v_fma_f64 v[64:65], v[106:107], s[6:7], -v[92:93]
	v_add_f64_e32 v[110:111], v[13:14], v[5:6]
	v_add_f64_e64 v[104:105], v[59:60], -v[49:50]
	v_fma_f64 v[62:63], v[108:109], v[178:179], v[62:63]
	v_add_f64_e32 v[108:109], v[59:60], v[49:50]
	v_add_f64_e32 v[64:65], v[3:4], v[64:65]
	s_delay_alu instid0(VALU_DEP_4)
	v_mul_f64_e32 v[134:135], s[22:23], v[104:105]
	v_mul_f64_e32 v[190:191], s[20:21], v[104:105]
	;; [unrolled: 1-line block ×5, first 2 shown]
	v_fma_f64 v[98:99], v[108:109], s[8:9], -v[96:97]
	v_fma_f64 v[136:137], v[132:133], s[8:9], v[134:135]
	v_fma_f64 v[192:193], v[132:133], s[14:15], v[190:191]
	;; [unrolled: 1-line block ×5, first 2 shown]
	v_add_f64_e32 v[64:65], v[98:99], v[64:65]
	v_add_f64_e64 v[98:99], v[15:16], -v[7:8]
	s_delay_alu instid0(VALU_DEP_1) | instskip(SKIP_1) | instid1(VALU_DEP_2)
	v_mul_f64_e32 v[100:101], s[30:31], v[98:99]
	v_mul_f64_e32 v[11:12], s[24:25], v[98:99]
	v_fma_f64 v[102:103], v[110:111], s[6:7], v[100:101]
	s_delay_alu instid0(VALU_DEP_1) | instskip(NEXT) | instid1(VALU_DEP_1)
	v_add_f64_e32 v[102:103], v[1:2], v[102:103]
	v_add_f64_e32 v[102:103], v[136:137], v[102:103]
	v_add_f64_e64 v[136:137], v[51:52], -v[41:42]
	s_delay_alu instid0(VALU_DEP_1) | instskip(NEXT) | instid1(VALU_DEP_1)
	v_mul_f64_e32 v[140:141], s[28:29], v[136:137]
	v_fma_f64 v[142:143], v[138:139], s[10:11], -v[140:141]
	s_delay_alu instid0(VALU_DEP_1) | instskip(SKIP_1) | instid1(VALU_DEP_1)
	v_add_f64_e32 v[64:65], v[142:143], v[64:65]
	v_add_f64_e64 v[142:143], v[55:56], -v[43:44]
	v_mul_f64_e32 v[146:147], s[28:29], v[142:143]
	s_delay_alu instid0(VALU_DEP_1) | instskip(NEXT) | instid1(VALU_DEP_1)
	v_fma_f64 v[148:149], v[144:145], s[10:11], v[146:147]
	v_add_f64_e32 v[102:103], v[148:149], v[102:103]
	v_add_f64_e64 v[148:149], v[37:38], -v[33:34]
	s_delay_alu instid0(VALU_DEP_1) | instskip(NEXT) | instid1(VALU_DEP_1)
	v_mul_f64_e32 v[152:153], s[20:21], v[148:149]
	v_fma_f64 v[154:155], v[150:151], s[14:15], -v[152:153]
	s_delay_alu instid0(VALU_DEP_1) | instskip(SKIP_1) | instid1(VALU_DEP_1)
	v_add_f64_e32 v[64:65], v[154:155], v[64:65]
	v_add_f64_e64 v[154:155], v[39:40], -v[35:36]
	v_mul_f64_e32 v[158:159], s[20:21], v[154:155]
	s_delay_alu instid0(VALU_DEP_1) | instskip(NEXT) | instid1(VALU_DEP_1)
	v_fma_f64 v[160:161], v[156:157], s[14:15], v[158:159]
	;; [unrolled: 11-line block ×3, first 2 shown]
	v_add_f64_e32 v[102:103], v[172:173], v[102:103]
	v_add_f64_e64 v[172:173], v[19:20], -v[23:24]
	s_delay_alu instid0(VALU_DEP_1) | instskip(NEXT) | instid1(VALU_DEP_1)
	v_mul_f64_e32 v[176:177], s[26:27], v[172:173]
	v_fma_f64 v[178:179], v[174:175], s[18:19], v[176:177]
	s_delay_alu instid0(VALU_DEP_1) | instskip(SKIP_2) | instid1(VALU_DEP_2)
	v_add_f64_e32 v[102:103], v[178:179], v[102:103]
	v_add_f64_e64 v[178:179], v[180:181], -v[21:22]
	v_add_f64_e32 v[180:181], v[19:20], v[23:24]
	v_mul_f64_e32 v[182:183], s[26:27], v[178:179]
	s_delay_alu instid0(VALU_DEP_1) | instskip(NEXT) | instid1(VALU_DEP_1)
	v_fma_f64 v[184:185], v[180:181], s[18:19], -v[182:183]
	v_add_f64_e32 v[64:65], v[184:185], v[64:65]
	v_mul_f64_e32 v[184:185], v[102:103], v[62:63]
	s_delay_alu instid0(VALU_DEP_2) | instskip(NEXT) | instid1(VALU_DEP_2)
	v_mul_f64_e32 v[62:63], v[64:65], v[62:63]
	v_fma_f64 v[64:65], v[64:65], v[68:69], -v[184:185]
	v_mul_f64_e32 v[184:185], s[20:21], v[94:95]
	s_delay_alu instid0(VALU_DEP_3) | instskip(SKIP_1) | instid1(VALU_DEP_3)
	v_fma_f64 v[62:63], v[102:103], v[68:69], v[62:63]
	v_mul_f64_e32 v[102:103], s[22:23], v[90:91]
	v_fma_f64 v[186:187], v[108:109], s[14:15], -v[184:185]
	s_delay_alu instid0(VALU_DEP_2) | instskip(NEXT) | instid1(VALU_DEP_1)
	v_fma_f64 v[68:69], v[106:107], s[8:9], -v[102:103]
	v_add_f64_e32 v[68:69], v[3:4], v[68:69]
	s_delay_alu instid0(VALU_DEP_1) | instskip(SKIP_1) | instid1(VALU_DEP_1)
	v_add_f64_e32 v[68:69], v[186:187], v[68:69]
	v_mul_f64_e32 v[186:187], s[22:23], v[98:99]
	v_fma_f64 v[188:189], v[110:111], s[8:9], v[186:187]
	s_delay_alu instid0(VALU_DEP_1) | instskip(NEXT) | instid1(VALU_DEP_1)
	v_add_f64_e32 v[188:189], v[1:2], v[188:189]
	v_add_f64_e32 v[188:189], v[192:193], v[188:189]
	v_mul_f64_e32 v[192:193], s[26:27], v[136:137]
	s_delay_alu instid0(VALU_DEP_1) | instskip(NEXT) | instid1(VALU_DEP_1)
	v_fma_f64 v[194:195], v[138:139], s[18:19], -v[192:193]
	v_add_f64_e32 v[68:69], v[194:195], v[68:69]
	v_mul_f64_e32 v[194:195], s[26:27], v[142:143]
	s_delay_alu instid0(VALU_DEP_1) | instskip(NEXT) | instid1(VALU_DEP_1)
	v_fma_f64 v[196:197], v[144:145], s[18:19], v[194:195]
	v_add_f64_e32 v[188:189], v[196:197], v[188:189]
	v_mul_f64_e32 v[196:197], s[38:39], v[148:149]
	s_delay_alu instid0(VALU_DEP_1) | instskip(NEXT) | instid1(VALU_DEP_1)
	v_fma_f64 v[198:199], v[150:151], s[16:17], -v[196:197]
	v_add_f64_e32 v[68:69], v[198:199], v[68:69]
	v_mul_f64_e32 v[198:199], s[38:39], v[154:155]
	s_delay_alu instid0(VALU_DEP_1) | instskip(NEXT) | instid1(VALU_DEP_1)
	v_fma_f64 v[200:201], v[156:157], s[16:17], v[198:199]
	v_add_f64_e32 v[188:189], v[200:201], v[188:189]
	v_mul_f64_e32 v[200:201], s[34:35], v[160:161]
	s_delay_alu instid0(VALU_DEP_1) | instskip(NEXT) | instid1(VALU_DEP_1)
	v_fma_f64 v[202:203], v[162:163], s[10:11], -v[200:201]
	v_add_f64_e32 v[68:69], v[202:203], v[68:69]
	v_mul_f64_e32 v[202:203], s[34:35], v[166:167]
	s_delay_alu instid0(VALU_DEP_1) | instskip(NEXT) | instid1(VALU_DEP_1)
	v_fma_f64 v[204:205], v[168:169], s[10:11], v[202:203]
	v_add_f64_e32 v[188:189], v[204:205], v[188:189]
	v_mul_f64_e32 v[204:205], s[36:37], v[172:173]
	s_delay_alu instid0(VALU_DEP_1) | instskip(NEXT) | instid1(VALU_DEP_1)
	v_fma_f64 v[206:207], v[174:175], s[6:7], v[204:205]
	v_add_f64_e32 v[188:189], v[206:207], v[188:189]
	v_mul_f64_e32 v[206:207], s[36:37], v[178:179]
	s_delay_alu instid0(VALU_DEP_1) | instskip(NEXT) | instid1(VALU_DEP_1)
	v_fma_f64 v[208:209], v[180:181], s[6:7], -v[206:207]
	v_add_f64_e32 v[68:69], v[208:209], v[68:69]
	s_delay_alu instid0(VALU_DEP_4) | instskip(NEXT) | instid1(VALU_DEP_2)
	v_mul_f64_e32 v[208:209], v[188:189], v[66:67]
	v_mul_f64_e32 v[66:67], v[68:69], v[66:67]
	s_delay_alu instid0(VALU_DEP_2) | instskip(SKIP_1) | instid1(VALU_DEP_3)
	v_fma_f64 v[68:69], v[68:69], v[72:73], -v[208:209]
	v_mul_f64_e32 v[208:209], s[26:27], v[94:95]
	v_fma_f64 v[66:67], v[188:189], v[72:73], v[66:67]
	v_mul_f64_e32 v[188:189], s[28:29], v[90:91]
	s_delay_alu instid0(VALU_DEP_3) | instskip(NEXT) | instid1(VALU_DEP_2)
	v_fma_f64 v[210:211], v[108:109], s[18:19], -v[208:209]
	v_fma_f64 v[72:73], v[106:107], s[10:11], -v[188:189]
	s_delay_alu instid0(VALU_DEP_1) | instskip(NEXT) | instid1(VALU_DEP_1)
	v_add_f64_e32 v[72:73], v[3:4], v[72:73]
	v_add_f64_e32 v[72:73], v[210:211], v[72:73]
	v_mul_f64_e32 v[210:211], s[28:29], v[98:99]
	s_delay_alu instid0(VALU_DEP_1) | instskip(NEXT) | instid1(VALU_DEP_1)
	v_fma_f64 v[212:213], v[110:111], s[10:11], v[210:211]
	v_add_f64_e32 v[212:213], v[1:2], v[212:213]
	s_delay_alu instid0(VALU_DEP_1) | instskip(SKIP_1) | instid1(VALU_DEP_1)
	v_add_f64_e32 v[212:213], v[216:217], v[212:213]
	v_mul_f64_e32 v[216:217], s[42:43], v[136:137]
	v_fma_f64 v[218:219], v[138:139], s[14:15], -v[216:217]
	s_delay_alu instid0(VALU_DEP_1) | instskip(SKIP_1) | instid1(VALU_DEP_1)
	v_add_f64_e32 v[72:73], v[218:219], v[72:73]
	v_mul_f64_e32 v[218:219], s[42:43], v[142:143]
	v_fma_f64 v[220:221], v[144:145], s[14:15], v[218:219]
	s_delay_alu instid0(VALU_DEP_1) | instskip(SKIP_1) | instid1(VALU_DEP_1)
	v_add_f64_e32 v[212:213], v[220:221], v[212:213]
	v_mul_f64_e32 v[220:221], s[36:37], v[148:149]
	v_fma_f64 v[222:223], v[150:151], s[6:7], -v[220:221]
	s_delay_alu instid0(VALU_DEP_1) | instskip(SKIP_1) | instid1(VALU_DEP_1)
	v_add_f64_e32 v[72:73], v[222:223], v[72:73]
	v_mul_f64_e32 v[222:223], s[36:37], v[154:155]
	v_fma_f64 v[224:225], v[156:157], s[6:7], v[222:223]
	;; [unrolled: 8-line block ×3, first 2 shown]
	s_delay_alu instid0(VALU_DEP_1) | instskip(SKIP_1) | instid1(VALU_DEP_1)
	v_add_f64_e32 v[212:213], v[228:229], v[212:213]
	v_mul_f64_e32 v[228:229], s[24:25], v[172:173]
	v_fma_f64 v[230:231], v[174:175], s[16:17], v[228:229]
	s_delay_alu instid0(VALU_DEP_1) | instskip(SKIP_1) | instid1(VALU_DEP_1)
	v_add_f64_e32 v[212:213], v[230:231], v[212:213]
	v_mul_f64_e32 v[230:231], s[24:25], v[178:179]
	v_fma_f64 v[232:233], v[180:181], s[16:17], -v[230:231]
	s_delay_alu instid0(VALU_DEP_1) | instskip(NEXT) | instid1(VALU_DEP_4)
	v_add_f64_e32 v[72:73], v[232:233], v[72:73]
	v_mul_f64_e32 v[232:233], v[212:213], v[70:71]
	s_delay_alu instid0(VALU_DEP_2) | instskip(NEXT) | instid1(VALU_DEP_2)
	v_mul_f64_e32 v[70:71], v[72:73], v[70:71]
	v_fma_f64 v[72:73], v[72:73], v[76:77], -v[232:233]
	v_mul_f64_e32 v[232:233], s[38:39], v[94:95]
	s_delay_alu instid0(VALU_DEP_3) | instskip(SKIP_1) | instid1(VALU_DEP_3)
	v_fma_f64 v[70:71], v[212:213], v[76:77], v[70:71]
	v_mul_f64_e32 v[212:213], s[20:21], v[90:91]
	v_fma_f64 v[234:235], v[108:109], s[16:17], -v[232:233]
	s_delay_alu instid0(VALU_DEP_2) | instskip(NEXT) | instid1(VALU_DEP_1)
	v_fma_f64 v[76:77], v[106:107], s[14:15], -v[212:213]
	v_add_f64_e32 v[76:77], v[3:4], v[76:77]
	s_delay_alu instid0(VALU_DEP_1) | instskip(SKIP_1) | instid1(VALU_DEP_1)
	v_add_f64_e32 v[76:77], v[234:235], v[76:77]
	v_mul_f64_e32 v[234:235], s[20:21], v[98:99]
	v_fma_f64 v[236:237], v[110:111], s[14:15], v[234:235]
	s_delay_alu instid0(VALU_DEP_1) | instskip(NEXT) | instid1(VALU_DEP_1)
	v_add_f64_e32 v[236:237], v[1:2], v[236:237]
	v_add_f64_e32 v[236:237], v[240:241], v[236:237]
	v_mul_f64_e32 v[240:241], s[36:37], v[136:137]
	s_delay_alu instid0(VALU_DEP_1) | instskip(NEXT) | instid1(VALU_DEP_1)
	v_fma_f64 v[242:243], v[138:139], s[6:7], -v[240:241]
	v_add_f64_e32 v[76:77], v[242:243], v[76:77]
	v_mul_f64_e32 v[242:243], s[36:37], v[142:143]
	s_delay_alu instid0(VALU_DEP_1) | instskip(NEXT) | instid1(VALU_DEP_1)
	v_fma_f64 v[244:245], v[144:145], s[6:7], v[242:243]
	v_add_f64_e32 v[236:237], v[244:245], v[236:237]
	v_mul_f64_e32 v[244:245], s[28:29], v[148:149]
	s_delay_alu instid0(VALU_DEP_1) | instskip(NEXT) | instid1(VALU_DEP_1)
	v_fma_f64 v[246:247], v[150:151], s[10:11], -v[244:245]
	v_add_f64_e32 v[76:77], v[246:247], v[76:77]
	v_mul_f64_e32 v[246:247], s[28:29], v[154:155]
	s_delay_alu instid0(VALU_DEP_1) | instskip(NEXT) | instid1(VALU_DEP_1)
	v_fma_f64 v[248:249], v[156:157], s[10:11], v[246:247]
	;; [unrolled: 8-line block ×3, first 2 shown]
	v_add_f64_e32 v[236:237], v[252:253], v[236:237]
	v_mul_f64_e32 v[252:253], s[40:41], v[172:173]
	s_delay_alu instid0(VALU_DEP_1) | instskip(NEXT) | instid1(VALU_DEP_1)
	v_fma_f64 v[254:255], v[174:175], s[8:9], v[252:253]
	v_add_f64_e32 v[236:237], v[254:255], v[236:237]
	v_mul_f64_e32 v[254:255], s[40:41], v[178:179]
	s_delay_alu instid0(VALU_DEP_1) | instskip(NEXT) | instid1(VALU_DEP_1)
	v_fma_f64 v[45:46], v[180:181], s[8:9], -v[254:255]
	v_add_f64_e32 v[45:46], v[45:46], v[76:77]
	s_delay_alu instid0(VALU_DEP_4) | instskip(NEXT) | instid1(VALU_DEP_2)
	v_mul_f64_e32 v[76:77], v[236:237], v[74:75]
	v_mul_f64_e32 v[74:75], v[45:46], v[74:75]
	s_delay_alu instid0(VALU_DEP_2) | instskip(SKIP_1) | instid1(VALU_DEP_3)
	v_fma_f64 v[76:77], v[45:46], v[88:89], -v[76:77]
	v_mul_f64_e32 v[45:46], s[24:25], v[90:91]
	v_fma_f64 v[74:75], v[236:237], v[88:89], v[74:75]
	v_mul_f64_e32 v[236:237], s[34:35], v[94:95]
	s_delay_alu instid0(VALU_DEP_3) | instskip(NEXT) | instid1(VALU_DEP_2)
	v_fma_f64 v[88:89], v[106:107], s[16:17], -v[45:46]
	v_fma_f64 v[9:10], v[108:109], s[10:11], -v[236:237]
	s_delay_alu instid0(VALU_DEP_2) | instskip(NEXT) | instid1(VALU_DEP_1)
	v_add_f64_e32 v[88:89], v[3:4], v[88:89]
	v_add_f64_e32 v[9:10], v[9:10], v[88:89]
	v_fma_f64 v[88:89], v[110:111], s[16:17], v[11:12]
	v_fma_f64 v[11:12], v[110:111], s[16:17], -v[11:12]
	s_delay_alu instid0(VALU_DEP_2) | instskip(NEXT) | instid1(VALU_DEP_2)
	v_add_f64_e32 v[88:89], v[1:2], v[88:89]
	v_add_f64_e32 v[11:12], v[1:2], v[11:12]
	s_delay_alu instid0(VALU_DEP_2) | instskip(SKIP_1) | instid1(VALU_DEP_1)
	v_add_f64_e32 v[88:89], v[118:119], v[88:89]
	v_mul_f64_e32 v[118:119], s[22:23], v[136:137]
	v_fma_f64 v[120:121], v[138:139], s[8:9], -v[118:119]
	s_delay_alu instid0(VALU_DEP_1) | instskip(SKIP_1) | instid1(VALU_DEP_1)
	v_add_f64_e32 v[9:10], v[120:121], v[9:10]
	v_mul_f64_e32 v[120:121], s[22:23], v[142:143]
	v_fma_f64 v[122:123], v[144:145], s[8:9], v[120:121]
	s_delay_alu instid0(VALU_DEP_1) | instskip(SKIP_1) | instid1(VALU_DEP_1)
	v_add_f64_e32 v[88:89], v[122:123], v[88:89]
	v_mul_f64_e32 v[122:123], s[44:45], v[148:149]
	v_fma_f64 v[124:125], v[150:151], s[18:19], -v[122:123]
	s_delay_alu instid0(VALU_DEP_1) | instskip(SKIP_1) | instid1(VALU_DEP_1)
	v_add_f64_e32 v[9:10], v[124:125], v[9:10]
	v_mul_f64_e32 v[124:125], s[44:45], v[154:155]
	v_fma_f64 v[7:8], v[156:157], s[18:19], v[124:125]
	s_delay_alu instid0(VALU_DEP_1) | instskip(SKIP_1) | instid1(VALU_DEP_1)
	;; [unrolled: 8-line block ×3, first 2 shown]
	v_add_f64_e32 v[7:8], v[126:127], v[7:8]
	v_mul_f64_e32 v[126:127], s[20:21], v[172:173]
	v_fma_f64 v[13:14], v[174:175], s[14:15], v[126:127]
	s_delay_alu instid0(VALU_DEP_1) | instskip(SKIP_1) | instid1(VALU_DEP_1)
	v_add_f64_e32 v[7:8], v[13:14], v[7:8]
	v_mul_f64_e32 v[13:14], s[20:21], v[178:179]
	v_fma_f64 v[15:16], v[180:181], s[14:15], -v[13:14]
	v_fma_f64 v[13:14], v[180:181], s[14:15], v[13:14]
	s_delay_alu instid0(VALU_DEP_2) | instskip(SKIP_1) | instid1(VALU_DEP_2)
	v_add_f64_e32 v[9:10], v[15:16], v[9:10]
	v_mul_f64_e32 v[15:16], v[7:8], v[80:81]
	v_mul_f64_e32 v[5:6], v[9:10], v[80:81]
	s_delay_alu instid0(VALU_DEP_2) | instskip(NEXT) | instid1(VALU_DEP_2)
	v_fma_f64 v[80:81], v[9:10], v[78:79], -v[15:16]
	v_fma_f64 v[78:79], v[7:8], v[78:79], v[5:6]
	v_mul_f64_e32 v[5:6], s[26:27], v[90:91]
	v_mul_f64_e32 v[7:8], s[36:37], v[94:95]
	;; [unrolled: 1-line block ×3, first 2 shown]
	s_delay_alu instid0(VALU_DEP_3) | instskip(NEXT) | instid1(VALU_DEP_3)
	v_fma_f64 v[9:10], v[106:107], s[18:19], -v[5:6]
	v_fma_f64 v[15:16], v[108:109], s[6:7], -v[7:8]
	v_fma_f64 v[5:6], v[106:107], s[18:19], v[5:6]
	v_fma_f64 v[7:8], v[108:109], s[6:7], v[7:8]
	s_delay_alu instid0(VALU_DEP_4) | instskip(NEXT) | instid1(VALU_DEP_3)
	v_add_f64_e32 v[9:10], v[3:4], v[9:10]
	v_add_f64_e32 v[5:6], v[3:4], v[5:6]
	s_delay_alu instid0(VALU_DEP_2) | instskip(SKIP_2) | instid1(VALU_DEP_4)
	v_add_f64_e32 v[9:10], v[15:16], v[9:10]
	v_mul_f64_e32 v[15:16], s[26:27], v[98:99]
	v_fma_f64 v[98:99], v[132:133], s[6:7], v[90:91]
	v_add_f64_e32 v[5:6], v[7:8], v[5:6]
	s_delay_alu instid0(VALU_DEP_3) | instskip(SKIP_1) | instid1(VALU_DEP_2)
	v_fma_f64 v[94:95], v[110:111], s[18:19], v[15:16]
	v_fma_f64 v[7:8], v[110:111], s[18:19], -v[15:16]
	v_add_f64_e32 v[94:95], v[1:2], v[94:95]
	s_delay_alu instid0(VALU_DEP_2) | instskip(NEXT) | instid1(VALU_DEP_2)
	v_add_f64_e32 v[7:8], v[1:2], v[7:8]
	v_add_f64_e32 v[94:95], v[98:99], v[94:95]
	v_mul_f64_e32 v[98:99], s[24:25], v[136:137]
	s_delay_alu instid0(VALU_DEP_1) | instskip(NEXT) | instid1(VALU_DEP_1)
	v_fma_f64 v[104:105], v[138:139], s[16:17], -v[98:99]
	v_add_f64_e32 v[9:10], v[104:105], v[9:10]
	v_mul_f64_e32 v[104:105], s[24:25], v[142:143]
	s_delay_alu instid0(VALU_DEP_1) | instskip(NEXT) | instid1(VALU_DEP_1)
	v_fma_f64 v[136:137], v[144:145], s[16:17], v[104:105]
	v_add_f64_e32 v[94:95], v[136:137], v[94:95]
	v_mul_f64_e32 v[136:137], s[40:41], v[148:149]
	s_delay_alu instid0(VALU_DEP_1) | instskip(NEXT) | instid1(VALU_DEP_1)
	v_fma_f64 v[142:143], v[150:151], s[8:9], -v[136:137]
	v_add_f64_e32 v[9:10], v[142:143], v[9:10]
	v_mul_f64_e32 v[142:143], s[40:41], v[154:155]
	s_delay_alu instid0(VALU_DEP_1) | instskip(NEXT) | instid1(VALU_DEP_1)
	v_fma_f64 v[148:149], v[156:157], s[8:9], v[142:143]
	;; [unrolled: 8-line block ×3, first 2 shown]
	v_add_f64_e32 v[94:95], v[160:161], v[94:95]
	v_mul_f64_e32 v[160:161], s[34:35], v[172:173]
	s_delay_alu instid0(VALU_DEP_1) | instskip(NEXT) | instid1(VALU_DEP_1)
	v_fma_f64 v[166:167], v[174:175], s[10:11], v[160:161]
	v_add_f64_e32 v[94:95], v[166:167], v[94:95]
	v_mul_f64_e32 v[166:167], s[34:35], v[178:179]
	s_delay_alu instid0(VALU_DEP_1) | instskip(NEXT) | instid1(VALU_DEP_1)
	v_fma_f64 v[172:173], v[180:181], s[10:11], -v[166:167]
	v_add_f64_e32 v[9:10], v[172:173], v[9:10]
	s_delay_alu instid0(VALU_DEP_4) | instskip(NEXT) | instid1(VALU_DEP_2)
	v_mul_f64_e32 v[172:173], v[94:95], v[84:85]
	v_mul_f64_e32 v[178:179], v[9:10], v[84:85]
	s_delay_alu instid0(VALU_DEP_2) | instskip(SKIP_1) | instid1(VALU_DEP_3)
	v_fma_f64 v[84:85], v[9:10], v[82:83], -v[172:173]
	v_fma_f64 v[9:10], v[132:133], s[6:7], -v[90:91]
	v_fma_f64 v[82:83], v[94:95], v[82:83], v[178:179]
	s_delay_alu instid0(VALU_DEP_2) | instskip(SKIP_1) | instid1(VALU_DEP_1)
	v_add_f64_e32 v[7:8], v[9:10], v[7:8]
	v_fma_f64 v[9:10], v[138:139], s[16:17], v[98:99]
	v_add_f64_e32 v[5:6], v[9:10], v[5:6]
	v_fma_f64 v[9:10], v[144:145], s[16:17], -v[104:105]
	s_delay_alu instid0(VALU_DEP_1) | instskip(SKIP_1) | instid1(VALU_DEP_1)
	v_add_f64_e32 v[7:8], v[9:10], v[7:8]
	v_fma_f64 v[9:10], v[150:151], s[8:9], v[136:137]
	v_add_f64_e32 v[5:6], v[9:10], v[5:6]
	v_fma_f64 v[9:10], v[156:157], s[8:9], -v[142:143]
	s_delay_alu instid0(VALU_DEP_1) | instskip(SKIP_1) | instid1(VALU_DEP_1)
	;; [unrolled: 5-line block ×3, first 2 shown]
	v_add_f64_e32 v[7:8], v[9:10], v[7:8]
	v_fma_f64 v[9:10], v[174:175], s[10:11], -v[160:161]
	v_add_f64_e32 v[7:8], v[9:10], v[7:8]
	v_fma_f64 v[9:10], v[180:181], s[10:11], v[166:167]
	s_delay_alu instid0(VALU_DEP_1) | instskip(NEXT) | instid1(VALU_DEP_3)
	v_add_f64_e32 v[5:6], v[9:10], v[5:6]
	v_mul_f64_e32 v[9:10], v[7:8], v[86:87]
	s_delay_alu instid0(VALU_DEP_2) | instskip(NEXT) | instid1(VALU_DEP_2)
	v_mul_f64_e32 v[15:16], v[5:6], v[86:87]
	v_fma_f64 v[9:10], v[5:6], v[130:131], -v[9:10]
	v_fma_f64 v[5:6], v[106:107], s[6:7], v[92:93]
	v_fma_f64 v[86:87], v[132:133], s[8:9], -v[134:135]
	s_delay_alu instid0(VALU_DEP_4) | instskip(SKIP_1) | instid1(VALU_DEP_4)
	v_fma_f64 v[7:8], v[7:8], v[130:131], v[15:16]
	v_fma_f64 v[15:16], v[108:109], s[8:9], v[96:97]
	v_add_f64_e32 v[5:6], v[3:4], v[5:6]
	s_delay_alu instid0(VALU_DEP_1) | instskip(SKIP_1) | instid1(VALU_DEP_1)
	v_add_f64_e32 v[5:6], v[15:16], v[5:6]
	v_fma_f64 v[15:16], v[110:111], s[6:7], -v[100:101]
	v_add_f64_e32 v[15:16], v[1:2], v[15:16]
	s_delay_alu instid0(VALU_DEP_1) | instskip(SKIP_1) | instid1(VALU_DEP_1)
	v_add_f64_e32 v[15:16], v[86:87], v[15:16]
	v_fma_f64 v[86:87], v[138:139], s[10:11], v[140:141]
	v_add_f64_e32 v[5:6], v[86:87], v[5:6]
	v_fma_f64 v[86:87], v[144:145], s[10:11], -v[146:147]
	s_delay_alu instid0(VALU_DEP_1) | instskip(SKIP_1) | instid1(VALU_DEP_1)
	v_add_f64_e32 v[15:16], v[86:87], v[15:16]
	v_fma_f64 v[86:87], v[150:151], s[14:15], v[152:153]
	v_add_f64_e32 v[5:6], v[86:87], v[5:6]
	v_fma_f64 v[86:87], v[156:157], s[14:15], -v[158:159]
	;; [unrolled: 5-line block ×3, first 2 shown]
	s_delay_alu instid0(VALU_DEP_1) | instskip(SKIP_1) | instid1(VALU_DEP_1)
	v_add_f64_e32 v[15:16], v[86:87], v[15:16]
	v_fma_f64 v[86:87], v[174:175], s[18:19], -v[176:177]
	v_add_f64_e32 v[15:16], v[86:87], v[15:16]
	v_fma_f64 v[86:87], v[180:181], s[18:19], v[182:183]
	s_delay_alu instid0(VALU_DEP_1) | instskip(NEXT) | instid1(VALU_DEP_3)
	v_add_f64_e32 v[5:6], v[86:87], v[5:6]
	v_mul_f64_e32 v[86:87], v[15:16], v[17:18]
	s_delay_alu instid0(VALU_DEP_2) | instskip(NEXT) | instid1(VALU_DEP_2)
	v_mul_f64_e32 v[17:18], v[5:6], v[17:18]
	v_fma_f64 v[92:93], v[5:6], v[112:113], -v[86:87]
	v_fma_f64 v[5:6], v[106:107], s[8:9], v[102:103]
	s_delay_alu instid0(VALU_DEP_3) | instskip(SKIP_1) | instid1(VALU_DEP_3)
	v_fma_f64 v[90:91], v[15:16], v[112:113], v[17:18]
	v_fma_f64 v[15:16], v[108:109], s[14:15], v[184:185]
	v_add_f64_e32 v[5:6], v[3:4], v[5:6]
	v_fma_f64 v[17:18], v[132:133], s[14:15], -v[190:191]
	s_delay_alu instid0(VALU_DEP_2) | instskip(SKIP_1) | instid1(VALU_DEP_1)
	v_add_f64_e32 v[5:6], v[15:16], v[5:6]
	v_fma_f64 v[15:16], v[110:111], s[8:9], -v[186:187]
	v_add_f64_e32 v[15:16], v[1:2], v[15:16]
	s_delay_alu instid0(VALU_DEP_1) | instskip(SKIP_1) | instid1(VALU_DEP_1)
	v_add_f64_e32 v[15:16], v[17:18], v[15:16]
	v_fma_f64 v[17:18], v[138:139], s[18:19], v[192:193]
	v_add_f64_e32 v[5:6], v[17:18], v[5:6]
	v_fma_f64 v[17:18], v[144:145], s[18:19], -v[194:195]
	s_delay_alu instid0(VALU_DEP_1) | instskip(SKIP_1) | instid1(VALU_DEP_1)
	v_add_f64_e32 v[15:16], v[17:18], v[15:16]
	v_fma_f64 v[17:18], v[150:151], s[16:17], v[196:197]
	v_add_f64_e32 v[5:6], v[17:18], v[5:6]
	v_fma_f64 v[17:18], v[156:157], s[16:17], -v[198:199]
	;; [unrolled: 5-line block ×3, first 2 shown]
	s_delay_alu instid0(VALU_DEP_1) | instskip(SKIP_1) | instid1(VALU_DEP_1)
	v_add_f64_e32 v[15:16], v[17:18], v[15:16]
	v_fma_f64 v[17:18], v[174:175], s[6:7], -v[204:205]
	v_add_f64_e32 v[15:16], v[17:18], v[15:16]
	v_fma_f64 v[17:18], v[180:181], s[6:7], v[206:207]
	s_delay_alu instid0(VALU_DEP_1) | instskip(NEXT) | instid1(VALU_DEP_3)
	v_add_f64_e32 v[5:6], v[17:18], v[5:6]
	v_mul_f64_e32 v[17:18], v[15:16], v[114:115]
	s_delay_alu instid0(VALU_DEP_2) | instskip(NEXT) | instid1(VALU_DEP_2)
	v_mul_f64_e32 v[86:87], v[5:6], v[114:115]
	v_fma_f64 v[96:97], v[5:6], v[116:117], -v[17:18]
	v_fma_f64 v[5:6], v[106:107], s[16:17], v[45:46]
	v_fma_f64 v[45:46], v[144:145], s[14:15], -v[218:219]
	scratch_load_b64 v[17:18], off, off offset:88 th:TH_LOAD_LU ; 8-byte Folded Reload
	v_fma_f64 v[94:95], v[15:16], v[116:117], v[86:87]
	v_fma_f64 v[15:16], v[108:109], s[10:11], v[236:237]
	v_add_f64_e32 v[5:6], v[3:4], v[5:6]
	s_delay_alu instid0(VALU_DEP_1) | instskip(SKIP_1) | instid1(VALU_DEP_1)
	v_add_f64_e32 v[5:6], v[15:16], v[5:6]
	v_fma_f64 v[15:16], v[132:133], s[10:11], -v[53:54]
	v_add_f64_e32 v[11:12], v[15:16], v[11:12]
	v_fma_f64 v[15:16], v[138:139], s[8:9], v[118:119]
	s_delay_alu instid0(VALU_DEP_1) | instskip(SKIP_1) | instid1(VALU_DEP_1)
	v_add_f64_e32 v[5:6], v[15:16], v[5:6]
	v_fma_f64 v[15:16], v[144:145], s[8:9], -v[120:121]
	v_add_f64_e32 v[11:12], v[15:16], v[11:12]
	v_fma_f64 v[15:16], v[150:151], s[18:19], v[122:123]
	;; [unrolled: 5-line block ×3, first 2 shown]
	s_delay_alu instid0(VALU_DEP_1) | instskip(SKIP_1) | instid1(VALU_DEP_2)
	v_add_f64_e32 v[5:6], v[15:16], v[5:6]
	v_fma_f64 v[15:16], v[168:169], s[6:7], -v[128:129]
	v_add_f64_e32 v[5:6], v[13:14], v[5:6]
	s_delay_alu instid0(VALU_DEP_2) | instskip(SKIP_1) | instid1(VALU_DEP_1)
	v_add_f64_e32 v[11:12], v[15:16], v[11:12]
	v_fma_f64 v[15:16], v[174:175], s[14:15], -v[126:127]
	v_add_f64_e32 v[11:12], v[15:16], v[11:12]
	scratch_load_b64 v[15:16], off, off offset:96 th:TH_LOAD_LU ; 8-byte Folded Reload
	s_wait_loadcnt 0x0
	v_mul_f64_e32 v[13:14], v[11:12], v[15:16]
	v_mul_f64_e32 v[15:16], v[5:6], v[15:16]
	s_delay_alu instid0(VALU_DEP_2) | instskip(SKIP_1) | instid1(VALU_DEP_3)
	v_fma_f64 v[100:101], v[5:6], v[17:18], -v[13:14]
	v_fma_f64 v[5:6], v[106:107], s[14:15], v[212:213]
	v_fma_f64 v[98:99], v[11:12], v[17:18], v[15:16]
	;; [unrolled: 1-line block ×3, first 2 shown]
	v_fma_f64 v[13:14], v[132:133], s[16:17], -v[238:239]
	s_clause 0x1
	scratch_load_b64 v[15:16], off, off offset:64 th:TH_LOAD_LU
	scratch_load_b64 v[17:18], off, off offset:56 th:TH_LOAD_LU
	v_add_f64_e32 v[5:6], v[3:4], v[5:6]
	s_delay_alu instid0(VALU_DEP_1) | instskip(SKIP_1) | instid1(VALU_DEP_1)
	v_add_f64_e32 v[5:6], v[11:12], v[5:6]
	v_fma_f64 v[11:12], v[110:111], s[14:15], -v[234:235]
	v_add_f64_e32 v[11:12], v[1:2], v[11:12]
	s_delay_alu instid0(VALU_DEP_1) | instskip(SKIP_1) | instid1(VALU_DEP_1)
	v_add_f64_e32 v[11:12], v[13:14], v[11:12]
	v_fma_f64 v[13:14], v[138:139], s[6:7], v[240:241]
	v_add_f64_e32 v[5:6], v[13:14], v[5:6]
	v_fma_f64 v[13:14], v[144:145], s[6:7], -v[242:243]
	s_delay_alu instid0(VALU_DEP_1) | instskip(SKIP_1) | instid1(VALU_DEP_1)
	v_add_f64_e32 v[11:12], v[13:14], v[11:12]
	v_fma_f64 v[13:14], v[150:151], s[10:11], v[244:245]
	v_add_f64_e32 v[5:6], v[13:14], v[5:6]
	v_fma_f64 v[13:14], v[156:157], s[10:11], -v[246:247]
	;; [unrolled: 5-line block ×3, first 2 shown]
	s_delay_alu instid0(VALU_DEP_1) | instskip(SKIP_1) | instid1(VALU_DEP_1)
	v_add_f64_e32 v[11:12], v[13:14], v[11:12]
	v_fma_f64 v[13:14], v[174:175], s[8:9], -v[252:253]
	v_add_f64_e32 v[11:12], v[13:14], v[11:12]
	v_fma_f64 v[13:14], v[180:181], s[8:9], v[254:255]
	s_delay_alu instid0(VALU_DEP_1) | instskip(SKIP_1) | instid1(VALU_DEP_3)
	v_add_f64_e32 v[5:6], v[13:14], v[5:6]
	s_wait_loadcnt 0x1
	v_mul_f64_e32 v[13:14], v[11:12], v[15:16]
	s_delay_alu instid0(VALU_DEP_2) | instskip(SKIP_1) | instid1(VALU_DEP_2)
	v_mul_f64_e32 v[15:16], v[5:6], v[15:16]
	s_wait_loadcnt 0x0
	v_fma_f64 v[104:105], v[5:6], v[17:18], -v[13:14]
	v_fma_f64 v[5:6], v[110:111], s[10:11], -v[210:211]
	v_fma_f64 v[13:14], v[138:139], s[14:15], v[216:217]
	s_delay_alu instid0(VALU_DEP_4) | instskip(SKIP_4) | instid1(VALU_DEP_4)
	v_fma_f64 v[102:103], v[11:12], v[17:18], v[15:16]
	v_fma_f64 v[11:12], v[106:107], s[10:11], v[188:189]
	;; [unrolled: 1-line block ×3, first 2 shown]
	v_fma_f64 v[17:18], v[132:133], s[18:19], -v[214:215]
	v_add_f64_e32 v[5:6], v[1:2], v[5:6]
	v_add_f64_e32 v[11:12], v[3:4], v[11:12]
	s_delay_alu instid0(VALU_DEP_2) | instskip(SKIP_1) | instid1(VALU_DEP_3)
	v_add_f64_e32 v[5:6], v[17:18], v[5:6]
	v_fma_f64 v[17:18], v[156:157], s[6:7], -v[222:223]
	v_add_f64_e32 v[11:12], v[15:16], v[11:12]
	v_fma_f64 v[15:16], v[150:151], s[6:7], v[220:221]
	s_delay_alu instid0(VALU_DEP_4) | instskip(SKIP_1) | instid1(VALU_DEP_4)
	v_add_f64_e32 v[5:6], v[45:46], v[5:6]
	v_fma_f64 v[45:46], v[168:169], s[8:9], -v[226:227]
	v_add_f64_e32 v[11:12], v[13:14], v[11:12]
	v_fma_f64 v[13:14], v[162:163], s[8:9], v[224:225]
	s_delay_alu instid0(VALU_DEP_4) | instskip(SKIP_1) | instid1(VALU_DEP_4)
	v_add_f64_e32 v[5:6], v[17:18], v[5:6]
	v_fma_f64 v[17:18], v[174:175], s[16:17], -v[228:229]
	v_add_f64_e32 v[11:12], v[15:16], v[11:12]
	v_fma_f64 v[15:16], v[180:181], s[16:17], v[230:231]
	s_delay_alu instid0(VALU_DEP_4) | instskip(NEXT) | instid1(VALU_DEP_3)
	v_add_f64_e32 v[5:6], v[45:46], v[5:6]
	v_add_f64_e32 v[11:12], v[13:14], v[11:12]
	s_delay_alu instid0(VALU_DEP_2)
	v_add_f64_e32 v[5:6], v[17:18], v[5:6]
	scratch_load_b64 v[17:18], off, off offset:24 th:TH_LOAD_LU ; 8-byte Folded Reload
	v_add_f64_e32 v[11:12], v[15:16], v[11:12]
	scratch_load_b64 v[15:16], off, off offset:32 th:TH_LOAD_LU ; 8-byte Folded Reload
	s_wait_loadcnt 0x0
	v_mul_f64_e32 v[13:14], v[5:6], v[15:16]
	v_mul_f64_e32 v[15:16], v[11:12], v[15:16]
	s_delay_alu instid0(VALU_DEP_2) | instskip(NEXT) | instid1(VALU_DEP_2)
	v_fma_f64 v[108:109], v[11:12], v[17:18], -v[13:14]
	v_fma_f64 v[106:107], v[5:6], v[17:18], v[15:16]
	s_clause 0x2
	scratch_load_b64 v[5:6], off, off offset:80 th:TH_LOAD_LU
	scratch_load_b64 v[11:12], off, off offset:16 th:TH_LOAD_LU
	;; [unrolled: 1-line block ×3, first 2 shown]
	s_wait_loadcnt 0x2
	v_add_f64_e32 v[1:2], v[1:2], v[5:6]
	scratch_load_b64 v[5:6], off, off offset:72 th:TH_LOAD_LU ; 8-byte Folded Reload
	v_add_f64_e32 v[1:2], v[1:2], v[57:58]
	s_delay_alu instid0(VALU_DEP_1) | instskip(NEXT) | instid1(VALU_DEP_1)
	v_add_f64_e32 v[1:2], v[1:2], v[51:52]
	v_add_f64_e32 v[1:2], v[1:2], v[37:38]
	s_delay_alu instid0(VALU_DEP_1) | instskip(SKIP_4) | instid1(VALU_DEP_1)
	v_add_f64_e32 v[1:2], v[1:2], v[25:26]
	s_wait_loadcnt 0x0
	v_add_f64_e32 v[3:4], v[3:4], v[5:6]
	scratch_load_b64 v[5:6], off, off offset:104 th:TH_LOAD_LU ; 8-byte Folded Reload
	v_add_f64_e32 v[3:4], v[3:4], v[59:60]
	v_add_f64_e32 v[3:4], v[3:4], v[55:56]
	s_delay_alu instid0(VALU_DEP_1) | instskip(NEXT) | instid1(VALU_DEP_1)
	v_add_f64_e32 v[3:4], v[3:4], v[39:40]
	v_add_f64_e32 v[3:4], v[3:4], v[29:30]
	s_delay_alu instid0(VALU_DEP_1) | instskip(SKIP_1) | instid1(VALU_DEP_1)
	v_add_f64_e32 v[3:4], v[3:4], v[19:20]
	v_mad_u32_u24 v19, 0xa9, v0, v61
	v_add_nc_u32_e32 v15, 0x68, v19
	v_add_nc_u32_e32 v17, 0x75, v19
	;; [unrolled: 1-line block ×3, first 2 shown]
	v_add_f64_e32 v[3:4], v[3:4], v[23:24]
	s_delay_alu instid0(VALU_DEP_1) | instskip(NEXT) | instid1(VALU_DEP_1)
	v_add_f64_e32 v[3:4], v[3:4], v[31:32]
	v_add_f64_e32 v[3:4], v[3:4], v[35:36]
	s_wait_loadcnt 0x0
	v_add_f64_e32 v[1:2], v[1:2], v[5:6]
	scratch_load_b64 v[5:6], off, off offset:48 th:TH_LOAD_LU ; 8-byte Folded Reload
	v_add_f64_e32 v[3:4], v[3:4], v[43:44]
	v_add_f64_e32 v[1:2], v[1:2], v[21:22]
	s_delay_alu instid0(VALU_DEP_2) | instskip(NEXT) | instid1(VALU_DEP_2)
	v_add_f64_e32 v[3:4], v[3:4], v[49:50]
	v_add_f64_e32 v[1:2], v[1:2], v[27:28]
	s_delay_alu instid0(VALU_DEP_1) | instskip(NEXT) | instid1(VALU_DEP_1)
	v_add_f64_e32 v[1:2], v[1:2], v[33:34]
	v_add_f64_e32 v[1:2], v[1:2], v[41:42]
	s_delay_alu instid0(VALU_DEP_1) | instskip(SKIP_1) | instid1(VALU_DEP_1)
	v_add_f64_e32 v[1:2], v[1:2], v[47:48]
	s_wait_loadcnt 0x0
	v_add_f64_e32 v[1:2], v[1:2], v[5:6]
	scratch_load_b64 v[5:6], off, off offset:40 th:TH_LOAD_LU ; 8-byte Folded Reload
	s_wait_loadcnt 0x0
	v_add_f64_e32 v[3:4], v[3:4], v[5:6]
	v_mul_f64_e32 v[5:6], v[1:2], v[11:12]
	s_delay_alu instid0(VALU_DEP_2) | instskip(NEXT) | instid1(VALU_DEP_2)
	v_mul_f64_e32 v[11:12], v[3:4], v[11:12]
	v_fma_f64 v[3:4], v[3:4], v[13:14], -v[5:6]
	v_mad_co_u64_u32 v[5:6], null, s12, v19, 0
	s_delay_alu instid0(VALU_DEP_1) | instskip(NEXT) | instid1(VALU_DEP_4)
	v_mov_b32_e32 v0, v6
	v_fma_f64 v[1:2], v[1:2], v[13:14], v[11:12]
	v_mad_co_u64_u32 v[13:14], null, s12, v18, 0
	s_delay_alu instid0(VALU_DEP_2) | instskip(NEXT) | instid1(VALU_DEP_1)
	v_mad_co_u64_u32 v[11:12], null, s13, v19, v[0:1]
	v_mov_b32_e32 v6, v11
	scratch_load_b64 v[11:12], off, off th:TH_LOAD_LU ; 8-byte Folded Reload
	v_lshlrev_b64_e32 v[5:6], 4, v[5:6]
	s_wait_loadcnt 0x0
	v_lshlrev_b64_e32 v[11:12], 4, v[11:12]
	s_wait_alu 0xfffe
	s_delay_alu instid0(VALU_DEP_1) | instskip(SKIP_1) | instid1(VALU_DEP_2)
	v_add_co_u32 v22, vcc_lo, s0, v11
	s_wait_alu 0xfffd
	v_add_co_ci_u32_e32 v23, vcc_lo, s1, v12, vcc_lo
	v_mad_co_u64_u32 v[11:12], null, s12, v17, 0
	s_delay_alu instid0(VALU_DEP_3) | instskip(SKIP_1) | instid1(VALU_DEP_3)
	v_add_co_u32 v5, vcc_lo, v22, v5
	s_wait_alu 0xfffd
	v_add_co_ci_u32_e32 v6, vcc_lo, v23, v6, vcc_lo
	global_store_b128 v[5:6], v[1:4], off
	v_add_nc_u32_e32 v2, 13, v19
	v_add_nc_u32_e32 v4, 0x41, v19
	;; [unrolled: 1-line block ×4, first 2 shown]
	s_delay_alu instid0(VALU_DEP_4) | instskip(NEXT) | instid1(VALU_DEP_1)
	v_mad_co_u64_u32 v[0:1], null, s12, v2, 0
	v_mad_co_u64_u32 v[1:2], null, s13, v2, v[1:2]
	v_add_nc_u32_e32 v2, 26, v19
	s_delay_alu instid0(VALU_DEP_2) | instskip(NEXT) | instid1(VALU_DEP_1)
	v_lshlrev_b64_e32 v[0:1], 4, v[0:1]
	v_add_co_u32 v0, vcc_lo, v22, v0
	s_wait_alu 0xfffd
	s_delay_alu instid0(VALU_DEP_2) | instskip(SKIP_2) | instid1(VALU_DEP_1)
	v_add_co_ci_u32_e32 v1, vcc_lo, v23, v1, vcc_lo
	global_store_b128 v[0:1], v[62:65], off
	v_mad_co_u64_u32 v[0:1], null, s12, v2, 0
	v_mad_co_u64_u32 v[1:2], null, s13, v2, v[1:2]
	v_add_nc_u32_e32 v2, 39, v19
	s_delay_alu instid0(VALU_DEP_2) | instskip(NEXT) | instid1(VALU_DEP_1)
	v_lshlrev_b64_e32 v[0:1], 4, v[0:1]
	v_add_co_u32 v0, vcc_lo, v22, v0
	s_wait_alu 0xfffd
	s_delay_alu instid0(VALU_DEP_2) | instskip(SKIP_2) | instid1(VALU_DEP_1)
	v_add_co_ci_u32_e32 v1, vcc_lo, v23, v1, vcc_lo
	global_store_b128 v[0:1], v[66:69], off
	v_mad_co_u64_u32 v[0:1], null, s12, v2, 0
	v_mad_co_u64_u32 v[1:2], null, s13, v2, v[1:2]
	v_add_nc_u32_e32 v2, 52, v19
	s_delay_alu instid0(VALU_DEP_2) | instskip(NEXT) | instid1(VALU_DEP_1)
	v_lshlrev_b64_e32 v[0:1], 4, v[0:1]
	v_add_co_u32 v0, vcc_lo, v22, v0
	s_wait_alu 0xfffd
	s_delay_alu instid0(VALU_DEP_2) | instskip(SKIP_2) | instid1(VALU_DEP_1)
	v_add_co_ci_u32_e32 v1, vcc_lo, v23, v1, vcc_lo
	global_store_b128 v[0:1], v[70:73], off
	v_mad_co_u64_u32 v[0:1], null, s12, v2, 0
	v_mad_co_u64_u32 v[1:2], null, s13, v2, v[1:2]
	;; [unrolled: 1-line block ×3, first 2 shown]
	s_delay_alu instid0(VALU_DEP_2) | instskip(NEXT) | instid1(VALU_DEP_2)
	v_lshlrev_b64_e32 v[0:1], 4, v[0:1]
	v_mad_co_u64_u32 v[3:4], null, s13, v4, v[3:4]
	s_delay_alu instid0(VALU_DEP_2) | instskip(SKIP_1) | instid1(VALU_DEP_3)
	v_add_co_u32 v0, vcc_lo, v22, v0
	s_wait_alu 0xfffd
	v_add_co_ci_u32_e32 v1, vcc_lo, v23, v1, vcc_lo
	global_store_b128 v[0:1], v[74:77], off
	v_mad_co_u64_u32 v[0:1], null, s12, v5, 0
	s_delay_alu instid0(VALU_DEP_1) | instskip(SKIP_1) | instid1(VALU_DEP_2)
	v_mad_co_u64_u32 v[4:5], null, s13, v5, v[1:2]
	v_lshlrev_b64_e32 v[2:3], 4, v[2:3]
	v_mov_b32_e32 v1, v4
	s_delay_alu instid0(VALU_DEP_2) | instskip(SKIP_1) | instid1(VALU_DEP_3)
	v_add_co_u32 v2, vcc_lo, v22, v2
	s_wait_alu 0xfffd
	v_add_co_ci_u32_e32 v3, vcc_lo, v23, v3, vcc_lo
	s_delay_alu instid0(VALU_DEP_3)
	v_lshlrev_b64_e32 v[0:1], 4, v[0:1]
	v_mad_co_u64_u32 v[4:5], null, s12, v6, 0
	global_store_b128 v[2:3], v[78:81], off
	v_mad_co_u64_u32 v[2:3], null, s12, v15, 0
	v_add_co_u32 v0, vcc_lo, v22, v0
	s_wait_alu 0xfffd
	v_add_co_ci_u32_e32 v1, vcc_lo, v23, v1, vcc_lo
	global_store_b128 v[0:1], v[82:85], off
	v_dual_mov_b32 v0, v5 :: v_dual_mov_b32 v1, v3
	s_delay_alu instid0(VALU_DEP_1) | instskip(SKIP_3) | instid1(VALU_DEP_3)
	v_mad_co_u64_u32 v[5:6], null, s13, v6, v[0:1]
	v_mov_b32_e32 v0, v12
	v_mad_co_u64_u32 v[15:16], null, s13, v15, v[1:2]
	v_add_nc_u32_e32 v6, 0x9c, v19
	v_mad_co_u64_u32 v[0:1], null, s13, v17, v[0:1]
	v_mov_b32_e32 v1, v14
	v_lshlrev_b64_e32 v[4:5], 4, v[4:5]
	v_mov_b32_e32 v3, v15
	s_delay_alu instid0(VALU_DEP_3) | instskip(SKIP_4) | instid1(VALU_DEP_4)
	v_mad_co_u64_u32 v[16:17], null, s13, v18, v[1:2]
	v_add_nc_u32_e32 v1, 0x8f, v19
	v_mad_co_u64_u32 v[19:20], null, s12, v6, 0
	v_mov_b32_e32 v12, v0
	v_add_co_u32 v4, vcc_lo, v22, v4
	v_mad_co_u64_u32 v[17:18], null, s12, v1, 0
	v_mov_b32_e32 v14, v16
	s_wait_alu 0xfffd
	v_add_co_ci_u32_e32 v5, vcc_lo, v23, v5, vcc_lo
	s_delay_alu instid0(VALU_DEP_3) | instskip(SKIP_3) | instid1(VALU_DEP_1)
	v_mov_b32_e32 v0, v18
	global_store_b128 v[4:5], v[7:10], off
	v_mad_co_u64_u32 v[0:1], null, s13, v1, v[0:1]
	v_mov_b32_e32 v1, v20
	v_mad_co_u64_u32 v[20:21], null, s13, v6, v[1:2]
	s_delay_alu instid0(VALU_DEP_3) | instskip(SKIP_3) | instid1(VALU_DEP_4)
	v_mov_b32_e32 v18, v0
	v_lshlrev_b64_e32 v[0:1], 4, v[2:3]
	v_lshlrev_b64_e32 v[2:3], 4, v[11:12]
	;; [unrolled: 1-line block ×5, first 2 shown]
	v_add_co_u32 v0, vcc_lo, v22, v0
	s_wait_alu 0xfffd
	v_add_co_ci_u32_e32 v1, vcc_lo, v23, v1, vcc_lo
	v_add_co_u32 v2, vcc_lo, v22, v2
	s_wait_alu 0xfffd
	v_add_co_ci_u32_e32 v3, vcc_lo, v23, v3, vcc_lo
	;; [unrolled: 3-line block ×5, first 2 shown]
	s_clause 0x4
	global_store_b128 v[0:1], v[98:101], off
	global_store_b128 v[2:3], v[102:105], off
	;; [unrolled: 1-line block ×5, first 2 shown]
.LBB0_42:
	s_endpgm
	.section	.rodata,"a",@progbits
	.p2align	6, 0x0
	.amdhsa_kernel fft_rtc_back_len169_factors_13_13_wgs_156_tpt_13_dp_ip_CI_sbcc_twdbase5_3step_dirReg_intrinsicRead
		.amdhsa_group_segment_fixed_size 0
		.amdhsa_private_segment_fixed_size 116
		.amdhsa_kernarg_size 96
		.amdhsa_user_sgpr_count 2
		.amdhsa_user_sgpr_dispatch_ptr 0
		.amdhsa_user_sgpr_queue_ptr 0
		.amdhsa_user_sgpr_kernarg_segment_ptr 1
		.amdhsa_user_sgpr_dispatch_id 0
		.amdhsa_user_sgpr_private_segment_size 0
		.amdhsa_wavefront_size32 1
		.amdhsa_uses_dynamic_stack 0
		.amdhsa_enable_private_segment 1
		.amdhsa_system_sgpr_workgroup_id_x 1
		.amdhsa_system_sgpr_workgroup_id_y 0
		.amdhsa_system_sgpr_workgroup_id_z 0
		.amdhsa_system_sgpr_workgroup_info 0
		.amdhsa_system_vgpr_workitem_id 0
		.amdhsa_next_free_vgpr 256
		.amdhsa_next_free_sgpr 49
		.amdhsa_reserve_vcc 1
		.amdhsa_float_round_mode_32 0
		.amdhsa_float_round_mode_16_64 0
		.amdhsa_float_denorm_mode_32 3
		.amdhsa_float_denorm_mode_16_64 3
		.amdhsa_fp16_overflow 0
		.amdhsa_workgroup_processor_mode 1
		.amdhsa_memory_ordered 1
		.amdhsa_forward_progress 0
		.amdhsa_round_robin_scheduling 0
		.amdhsa_exception_fp_ieee_invalid_op 0
		.amdhsa_exception_fp_denorm_src 0
		.amdhsa_exception_fp_ieee_div_zero 0
		.amdhsa_exception_fp_ieee_overflow 0
		.amdhsa_exception_fp_ieee_underflow 0
		.amdhsa_exception_fp_ieee_inexact 0
		.amdhsa_exception_int_div_zero 0
	.end_amdhsa_kernel
	.text
.Lfunc_end0:
	.size	fft_rtc_back_len169_factors_13_13_wgs_156_tpt_13_dp_ip_CI_sbcc_twdbase5_3step_dirReg_intrinsicRead, .Lfunc_end0-fft_rtc_back_len169_factors_13_13_wgs_156_tpt_13_dp_ip_CI_sbcc_twdbase5_3step_dirReg_intrinsicRead
                                        ; -- End function
	.section	.AMDGPU.csdata,"",@progbits
; Kernel info:
; codeLenInByte = 12784
; NumSgprs: 51
; NumVgprs: 256
; ScratchSize: 116
; MemoryBound: 0
; FloatMode: 240
; IeeeMode: 1
; LDSByteSize: 0 bytes/workgroup (compile time only)
; SGPRBlocks: 6
; VGPRBlocks: 31
; NumSGPRsForWavesPerEU: 51
; NumVGPRsForWavesPerEU: 256
; Occupancy: 5
; WaveLimiterHint : 1
; COMPUTE_PGM_RSRC2:SCRATCH_EN: 1
; COMPUTE_PGM_RSRC2:USER_SGPR: 2
; COMPUTE_PGM_RSRC2:TRAP_HANDLER: 0
; COMPUTE_PGM_RSRC2:TGID_X_EN: 1
; COMPUTE_PGM_RSRC2:TGID_Y_EN: 0
; COMPUTE_PGM_RSRC2:TGID_Z_EN: 0
; COMPUTE_PGM_RSRC2:TIDIG_COMP_CNT: 0
	.text
	.p2alignl 7, 3214868480
	.fill 96, 4, 3214868480
	.type	__hip_cuid_95a18bf7172d6092,@object ; @__hip_cuid_95a18bf7172d6092
	.section	.bss,"aw",@nobits
	.globl	__hip_cuid_95a18bf7172d6092
__hip_cuid_95a18bf7172d6092:
	.byte	0                               ; 0x0
	.size	__hip_cuid_95a18bf7172d6092, 1

	.ident	"AMD clang version 19.0.0git (https://github.com/RadeonOpenCompute/llvm-project roc-6.4.0 25133 c7fe45cf4b819c5991fe208aaa96edf142730f1d)"
	.section	".note.GNU-stack","",@progbits
	.addrsig
	.addrsig_sym __hip_cuid_95a18bf7172d6092
	.amdgpu_metadata
---
amdhsa.kernels:
  - .args:
      - .actual_access:  read_only
        .address_space:  global
        .offset:         0
        .size:           8
        .value_kind:     global_buffer
      - .address_space:  global
        .offset:         8
        .size:           8
        .value_kind:     global_buffer
      - .offset:         16
        .size:           8
        .value_kind:     by_value
      - .actual_access:  read_only
        .address_space:  global
        .offset:         24
        .size:           8
        .value_kind:     global_buffer
      - .actual_access:  read_only
        .address_space:  global
        .offset:         32
        .size:           8
        .value_kind:     global_buffer
      - .offset:         40
        .size:           8
        .value_kind:     by_value
      - .actual_access:  read_only
        .address_space:  global
        .offset:         48
        .size:           8
        .value_kind:     global_buffer
      - .actual_access:  read_only
        .address_space:  global
        .offset:         56
        .size:           8
        .value_kind:     global_buffer
      - .offset:         64
        .size:           4
        .value_kind:     by_value
      - .actual_access:  read_only
        .address_space:  global
        .offset:         72
        .size:           8
        .value_kind:     global_buffer
      - .actual_access:  read_only
        .address_space:  global
        .offset:         80
        .size:           8
        .value_kind:     global_buffer
      - .address_space:  global
        .offset:         88
        .size:           8
        .value_kind:     global_buffer
    .group_segment_fixed_size: 0
    .kernarg_segment_align: 8
    .kernarg_segment_size: 96
    .language:       OpenCL C
    .language_version:
      - 2
      - 0
    .max_flat_workgroup_size: 156
    .name:           fft_rtc_back_len169_factors_13_13_wgs_156_tpt_13_dp_ip_CI_sbcc_twdbase5_3step_dirReg_intrinsicRead
    .private_segment_fixed_size: 116
    .sgpr_count:     51
    .sgpr_spill_count: 0
    .symbol:         fft_rtc_back_len169_factors_13_13_wgs_156_tpt_13_dp_ip_CI_sbcc_twdbase5_3step_dirReg_intrinsicRead.kd
    .uniform_work_group_size: 1
    .uses_dynamic_stack: false
    .vgpr_count:     256
    .vgpr_spill_count: 28
    .wavefront_size: 32
    .workgroup_processor_mode: 1
amdhsa.target:   amdgcn-amd-amdhsa--gfx1201
amdhsa.version:
  - 1
  - 2
...

	.end_amdgpu_metadata
